;; amdgpu-corpus repo=ROCm/rocFFT kind=compiled arch=gfx906 opt=O3
	.text
	.amdgcn_target "amdgcn-amd-amdhsa--gfx906"
	.amdhsa_code_object_version 6
	.protected	bluestein_single_back_len612_dim1_half_op_CI_CI ; -- Begin function bluestein_single_back_len612_dim1_half_op_CI_CI
	.globl	bluestein_single_back_len612_dim1_half_op_CI_CI
	.p2align	8
	.type	bluestein_single_back_len612_dim1_half_op_CI_CI,@function
bluestein_single_back_len612_dim1_half_op_CI_CI: ; @bluestein_single_back_len612_dim1_half_op_CI_CI
; %bb.0:
	s_load_dwordx4 s[0:3], s[4:5], 0x28
	v_mul_u32_u24_e32 v1, 0x506, v0
	v_add_u32_sdwa v4, s6, v1 dst_sel:DWORD dst_unused:UNUSED_PAD src0_sel:DWORD src1_sel:WORD_1
	v_mov_b32_e32 v5, 0
	s_waitcnt lgkmcnt(0)
	v_cmp_gt_u64_e32 vcc, s[0:1], v[4:5]
	s_and_saveexec_b64 s[0:1], vcc
	s_cbranch_execz .LBB0_15
; %bb.1:
	s_load_dwordx2 s[6:7], s[4:5], 0x0
	s_load_dwordx2 s[12:13], s[4:5], 0x38
	v_mov_b32_e32 v2, 51
	v_mul_lo_u16_sdwa v1, v1, v2 dst_sel:DWORD dst_unused:UNUSED_PAD src0_sel:WORD_1 src1_sel:DWORD
	v_sub_u16_e32 v29, v0, v1
	v_cmp_gt_u16_e32 vcc, 36, v29
	v_lshlrev_b32_e32 v30, 2, v29
	s_and_saveexec_b64 s[14:15], vcc
	s_cbranch_execz .LBB0_3
; %bb.2:
	s_load_dwordx2 s[0:1], s[4:5], 0x18
	s_waitcnt lgkmcnt(0)
	s_load_dwordx4 s[8:11], s[0:1], 0x0
	s_waitcnt lgkmcnt(0)
	v_mad_u64_u32 v[0:1], s[0:1], s10, v4, 0
	v_mad_u64_u32 v[2:3], s[0:1], s8, v29, 0
	;; [unrolled: 1-line block ×4, first 2 shown]
	v_mov_b32_e32 v1, v5
	v_lshlrev_b64 v[0:1], 2, v[0:1]
	v_mov_b32_e32 v3, v6
	v_mov_b32_e32 v7, s3
	v_lshlrev_b64 v[2:3], 2, v[2:3]
	v_add_co_u32_e64 v8, s[0:1], s2, v0
	v_addc_co_u32_e64 v7, s[0:1], v7, v1, s[0:1]
	v_add_co_u32_e64 v0, s[0:1], v8, v2
	v_addc_co_u32_e64 v1, s[0:1], v7, v3, s[0:1]
	s_mul_i32 s0, s9, 0x90
	s_mul_hi_u32 s3, s8, 0x90
	s_add_i32 s3, s3, s0
	s_mul_i32 s2, s8, 0x90
	v_mov_b32_e32 v3, s3
	v_add_co_u32_e64 v2, s[0:1], s2, v0
	v_addc_co_u32_e64 v3, s[0:1], v1, v3, s[0:1]
	global_load_dword v5, v[0:1], off
	global_load_dword v6, v[2:3], off
	global_load_dword v9, v30, s[6:7]
	global_load_dword v10, v30, s[6:7] offset:144
	v_mov_b32_e32 v1, s3
	v_add_co_u32_e64 v0, s[0:1], s2, v2
	v_addc_co_u32_e64 v1, s[0:1], v3, v1, s[0:1]
	global_load_dword v2, v[0:1], off
	global_load_dword v3, v30, s[6:7] offset:288
	v_mov_b32_e32 v11, s3
	v_add_co_u32_e64 v0, s[0:1], s2, v0
	v_addc_co_u32_e64 v1, s[0:1], v1, v11, s[0:1]
	global_load_dword v11, v[0:1], off
	global_load_dword v12, v30, s[6:7] offset:432
	global_load_dword v13, v30, s[6:7] offset:576
	;; [unrolled: 1-line block ×5, first 2 shown]
	v_mov_b32_e32 v17, s3
	v_add_co_u32_e64 v0, s[0:1], s2, v0
	v_addc_co_u32_e64 v1, s[0:1], v1, v17, s[0:1]
	global_load_dword v17, v[0:1], off
	v_mov_b32_e32 v18, s3
	v_add_co_u32_e64 v0, s[0:1], s2, v0
	v_addc_co_u32_e64 v1, s[0:1], v1, v18, s[0:1]
	global_load_dword v18, v[0:1], off
	;; [unrolled: 4-line block ×5, first 2 shown]
	v_add_co_u32_e64 v0, s[0:1], s2, v0
	v_mov_b32_e32 v28, s3
	s_waitcnt vmcnt(16)
	v_lshrrev_b32_e32 v22, 16, v5
	s_waitcnt vmcnt(14)
	v_mul_f16_sdwa v23, v9, v5 dst_sel:DWORD dst_unused:UNUSED_PAD src0_sel:WORD_1 src1_sel:DWORD
	v_mul_f16_sdwa v24, v9, v22 dst_sel:DWORD dst_unused:UNUSED_PAD src0_sel:WORD_1 src1_sel:DWORD
	v_fma_f16 v22, v9, v22, -v23
	v_lshrrev_b32_e32 v23, 16, v6
	s_waitcnt vmcnt(13)
	v_mul_f16_sdwa v25, v10, v6 dst_sel:DWORD dst_unused:UNUSED_PAD src0_sel:WORD_1 src1_sel:DWORD
	v_fma_f16 v5, v9, v5, v24
	v_mul_f16_sdwa v9, v10, v23 dst_sel:DWORD dst_unused:UNUSED_PAD src0_sel:WORD_1 src1_sel:DWORD
	s_waitcnt vmcnt(12)
	v_lshrrev_b32_e32 v24, 16, v2
	v_fma_f16 v23, v10, v23, -v25
	s_waitcnt vmcnt(11)
	v_mul_f16_sdwa v25, v3, v2 dst_sel:DWORD dst_unused:UNUSED_PAD src0_sel:WORD_1 src1_sel:DWORD
	v_pack_b32_f16 v5, v5, v22
	v_fma_f16 v6, v10, v6, v9
	v_mul_f16_sdwa v9, v3, v24 dst_sel:DWORD dst_unused:UNUSED_PAD src0_sel:WORD_1 src1_sel:DWORD
	s_waitcnt vmcnt(10)
	v_lshrrev_b32_e32 v22, 16, v11
	v_fma_f16 v10, v3, v24, -v25
	s_waitcnt vmcnt(9)
	v_mul_f16_sdwa v24, v12, v11 dst_sel:DWORD dst_unused:UNUSED_PAD src0_sel:WORD_1 src1_sel:DWORD
	v_fma_f16 v2, v3, v2, v9
	v_mul_f16_sdwa v3, v12, v22 dst_sel:DWORD dst_unused:UNUSED_PAD src0_sel:WORD_1 src1_sel:DWORD
	v_fma_f16 v9, v12, v22, -v24
	v_pack_b32_f16 v10, v2, v10
	v_fma_f16 v2, v12, v11, v3
	v_pack_b32_f16 v6, v6, v23
	v_pack_b32_f16 v9, v2, v9
	v_mov_b32_e32 v2, s3
	ds_write2_b32 v30, v5, v6 offset1:36
	v_addc_co_u32_e64 v1, s[0:1], v1, v2, s[0:1]
	global_load_dword v11, v[0:1], off
	global_load_dword v12, v30, s[6:7] offset:1152
	global_load_dword v22, v30, s[6:7] offset:1296
	v_add_co_u32_e64 v0, s[0:1], s2, v0
	v_addc_co_u32_e64 v1, s[0:1], v1, v2, s[0:1]
	global_load_dword v23, v[0:1], off
	v_add_co_u32_e64 v0, s[0:1], s2, v0
	v_addc_co_u32_e64 v1, s[0:1], v1, v2, s[0:1]
	global_load_dword v24, v[0:1], off
	;; [unrolled: 3-line block ×3, first 2 shown]
	global_load_dword v26, v30, s[6:7] offset:1440
	global_load_dword v27, v30, s[6:7] offset:1584
	;; [unrolled: 1-line block ×3, first 2 shown]
	v_or_b32_e32 v6, 0x240, v29
	v_mad_u64_u32 v[2:3], s[0:1], s8, v6, 0
	v_mov_b32_e32 v5, s3
	v_add_co_u32_e64 v0, s[0:1], s2, v0
	v_addc_co_u32_e64 v1, s[0:1], v1, v5, s[0:1]
	v_mad_u64_u32 v[5:6], s[0:1], s9, v6, v[3:4]
	global_load_dword v6, v[0:1], off
	global_load_dword v32, v30, s[6:7] offset:1872
	v_add_co_u32_e64 v0, s[0:1], s2, v0
	v_addc_co_u32_e64 v1, s[0:1], v1, v28, s[0:1]
	global_load_dword v28, v[0:1], off
	global_load_dword v33, v30, s[6:7] offset:2016
	v_mov_b32_e32 v3, v5
	v_mov_b32_e32 v5, s3
	v_add_co_u32_e64 v0, s[0:1], s2, v0
	v_addc_co_u32_e64 v1, s[0:1], v1, v5, s[0:1]
	v_lshlrev_b64 v[2:3], 2, v[2:3]
	global_load_dword v5, v[0:1], off
	global_load_dword v34, v30, s[6:7] offset:2160
	v_add_co_u32_e64 v0, s[0:1], v8, v2
	v_addc_co_u32_e64 v1, s[0:1], v7, v3, s[0:1]
	ds_write2_b32 v30, v10, v9 offset0:72 offset1:108
	global_load_dword v7, v[0:1], off
	global_load_dword v8, v30, s[6:7] offset:2304
	s_waitcnt vmcnt(21)
	v_lshrrev_b32_e32 v2, 16, v17
	v_mul_f16_sdwa v3, v13, v2 dst_sel:DWORD dst_unused:UNUSED_PAD src0_sel:WORD_1 src1_sel:DWORD
	v_mul_f16_sdwa v1, v13, v17 dst_sel:DWORD dst_unused:UNUSED_PAD src0_sel:WORD_1 src1_sel:DWORD
	v_fma_f16 v0, v13, v17, v3
	v_fma_f16 v1, v13, v2, -v1
	v_pack_b32_f16 v0, v0, v1
	s_waitcnt vmcnt(20)
	v_lshrrev_b32_e32 v1, 16, v18
	v_mul_f16_sdwa v2, v14, v1 dst_sel:DWORD dst_unused:UNUSED_PAD src0_sel:WORD_1 src1_sel:DWORD
	v_mul_f16_sdwa v3, v14, v18 dst_sel:DWORD dst_unused:UNUSED_PAD src0_sel:WORD_1 src1_sel:DWORD
	v_fma_f16 v2, v14, v18, v2
	v_fma_f16 v1, v14, v1, -v3
	v_pack_b32_f16 v1, v2, v1
	ds_write2_b32 v30, v0, v1 offset0:144 offset1:180
	s_waitcnt vmcnt(19)
	v_lshrrev_b32_e32 v0, 16, v19
	v_mul_f16_sdwa v1, v15, v0 dst_sel:DWORD dst_unused:UNUSED_PAD src0_sel:WORD_1 src1_sel:DWORD
	v_mul_f16_sdwa v2, v15, v19 dst_sel:DWORD dst_unused:UNUSED_PAD src0_sel:WORD_1 src1_sel:DWORD
	v_fma_f16 v1, v15, v19, v1
	v_fma_f16 v0, v15, v0, -v2
	v_pack_b32_f16 v0, v1, v0
	s_waitcnt vmcnt(18)
	v_lshrrev_b32_e32 v1, 16, v20
	v_mul_f16_sdwa v2, v16, v1 dst_sel:DWORD dst_unused:UNUSED_PAD src0_sel:WORD_1 src1_sel:DWORD
	v_mul_f16_sdwa v3, v16, v20 dst_sel:DWORD dst_unused:UNUSED_PAD src0_sel:WORD_1 src1_sel:DWORD
	v_fma_f16 v2, v16, v20, v2
	v_fma_f16 v1, v16, v1, -v3
	v_pack_b32_f16 v1, v2, v1
	ds_write2_b32 v30, v0, v1 offset0:216 offset1:252
	s_waitcnt vmcnt(17)
	v_lshrrev_b32_e32 v0, 16, v21
	s_waitcnt vmcnt(15)
	v_mul_f16_sdwa v1, v12, v0 dst_sel:DWORD dst_unused:UNUSED_PAD src0_sel:WORD_1 src1_sel:DWORD
	v_mul_f16_sdwa v2, v12, v21 dst_sel:DWORD dst_unused:UNUSED_PAD src0_sel:WORD_1 src1_sel:DWORD
	v_fma_f16 v1, v12, v21, v1
	v_fma_f16 v0, v12, v0, -v2
	v_pack_b32_f16 v0, v1, v0
	v_lshrrev_b32_e32 v1, 16, v11
	s_waitcnt vmcnt(14)
	v_mul_f16_sdwa v2, v22, v1 dst_sel:DWORD dst_unused:UNUSED_PAD src0_sel:WORD_1 src1_sel:DWORD
	v_mul_f16_sdwa v3, v22, v11 dst_sel:DWORD dst_unused:UNUSED_PAD src0_sel:WORD_1 src1_sel:DWORD
	v_fma_f16 v2, v22, v11, v2
	v_fma_f16 v1, v22, v1, -v3
	v_pack_b32_f16 v1, v2, v1
	v_add_u32_e32 v2, 0x400, v30
	ds_write2_b32 v2, v0, v1 offset0:32 offset1:68
	s_waitcnt vmcnt(13)
	v_lshrrev_b32_e32 v0, 16, v23
	s_waitcnt vmcnt(10)
	v_mul_f16_sdwa v1, v26, v0 dst_sel:DWORD dst_unused:UNUSED_PAD src0_sel:WORD_1 src1_sel:DWORD
	v_mul_f16_sdwa v3, v26, v23 dst_sel:DWORD dst_unused:UNUSED_PAD src0_sel:WORD_1 src1_sel:DWORD
	v_fma_f16 v1, v26, v23, v1
	v_fma_f16 v0, v26, v0, -v3
	v_pack_b32_f16 v0, v1, v0
	v_lshrrev_b32_e32 v1, 16, v24
	s_waitcnt vmcnt(9)
	v_mul_f16_sdwa v3, v27, v1 dst_sel:DWORD dst_unused:UNUSED_PAD src0_sel:WORD_1 src1_sel:DWORD
	v_mul_f16_sdwa v9, v27, v24 dst_sel:DWORD dst_unused:UNUSED_PAD src0_sel:WORD_1 src1_sel:DWORD
	v_fma_f16 v3, v27, v24, v3
	v_fma_f16 v1, v27, v1, -v9
	v_pack_b32_f16 v1, v3, v1
	ds_write2_b32 v2, v0, v1 offset0:104 offset1:140
	v_lshrrev_b32_e32 v0, 16, v25
	s_waitcnt vmcnt(8)
	v_mul_f16_sdwa v1, v31, v0 dst_sel:DWORD dst_unused:UNUSED_PAD src0_sel:WORD_1 src1_sel:DWORD
	v_mul_f16_sdwa v3, v31, v25 dst_sel:DWORD dst_unused:UNUSED_PAD src0_sel:WORD_1 src1_sel:DWORD
	v_fma_f16 v1, v31, v25, v1
	v_fma_f16 v0, v31, v0, -v3
	v_pack_b32_f16 v0, v1, v0
	s_waitcnt vmcnt(7)
	v_lshrrev_b32_e32 v1, 16, v6
	s_waitcnt vmcnt(6)
	v_mul_f16_sdwa v3, v32, v1 dst_sel:DWORD dst_unused:UNUSED_PAD src0_sel:WORD_1 src1_sel:DWORD
	v_fma_f16 v3, v32, v6, v3
	v_mul_f16_sdwa v6, v32, v6 dst_sel:DWORD dst_unused:UNUSED_PAD src0_sel:WORD_1 src1_sel:DWORD
	v_fma_f16 v1, v32, v1, -v6
	v_pack_b32_f16 v1, v3, v1
	ds_write2_b32 v2, v0, v1 offset0:176 offset1:212
	s_waitcnt vmcnt(5)
	v_lshrrev_b32_e32 v0, 16, v28
	s_waitcnt vmcnt(4)
	v_mul_f16_sdwa v1, v33, v0 dst_sel:DWORD dst_unused:UNUSED_PAD src0_sel:WORD_1 src1_sel:DWORD
	v_mul_f16_sdwa v2, v33, v28 dst_sel:DWORD dst_unused:UNUSED_PAD src0_sel:WORD_1 src1_sel:DWORD
	v_fma_f16 v1, v33, v28, v1
	v_fma_f16 v0, v33, v0, -v2
	v_pack_b32_f16 v0, v1, v0
	s_waitcnt vmcnt(3)
	v_lshrrev_b32_e32 v1, 16, v5
	s_waitcnt vmcnt(2)
	v_mul_f16_sdwa v2, v34, v1 dst_sel:DWORD dst_unused:UNUSED_PAD src0_sel:WORD_1 src1_sel:DWORD
	v_mul_f16_sdwa v3, v34, v5 dst_sel:DWORD dst_unused:UNUSED_PAD src0_sel:WORD_1 src1_sel:DWORD
	v_fma_f16 v2, v34, v5, v2
	v_fma_f16 v1, v34, v1, -v3
	v_pack_b32_f16 v1, v2, v1
	v_add_u32_e32 v2, 0x600, v30
	ds_write2_b32 v2, v0, v1 offset0:120 offset1:156
	s_waitcnt vmcnt(1)
	v_lshrrev_b32_e32 v0, 16, v7
	s_waitcnt vmcnt(0)
	v_mul_f16_sdwa v1, v8, v0 dst_sel:DWORD dst_unused:UNUSED_PAD src0_sel:WORD_1 src1_sel:DWORD
	v_mul_f16_sdwa v2, v8, v7 dst_sel:DWORD dst_unused:UNUSED_PAD src0_sel:WORD_1 src1_sel:DWORD
	v_fma_f16 v1, v8, v7, v1
	v_fma_f16 v0, v8, v0, -v2
	v_pack_b32_f16 v0, v1, v0
	ds_write_b32 v30, v0 offset:2304
.LBB0_3:
	s_or_b64 exec, exec, s[14:15]
	s_load_dwordx2 s[2:3], s[4:5], 0x20
	s_load_dwordx2 s[0:1], s[4:5], 0x8
	v_mov_b32_e32 v0, 0
	s_waitcnt lgkmcnt(0)
	; wave barrier
	s_waitcnt lgkmcnt(0)
                                        ; implicit-def: $vgpr21
                                        ; implicit-def: $vgpr10
                                        ; implicit-def: $vgpr3
                                        ; implicit-def: $vgpr12
                                        ; implicit-def: $vgpr16
                                        ; implicit-def: $vgpr14
                                        ; implicit-def: $vgpr18
                                        ; implicit-def: $vgpr20
                                        ; implicit-def: $vgpr58
	s_and_saveexec_b64 s[4:5], vcc
	s_cbranch_execz .LBB0_5
; %bb.4:
	v_add_u32_e32 v2, 0x400, v30
	ds_read2_b32 v[0:1], v30 offset1:36
	ds_read2_b32 v[19:20], v30 offset0:72 offset1:108
	ds_read2_b32 v[17:18], v30 offset0:144 offset1:180
	;; [unrolled: 1-line block ×6, first 2 shown]
	v_add_u32_e32 v5, 0x600, v30
	ds_read2_b32 v[9:10], v5 offset0:120 offset1:156
	ds_read_b32 v21, v30 offset:2304
	s_waitcnt lgkmcnt(0)
	v_alignbit_b32 v58, v19, v19, 16
.LBB0_5:
	s_or_b64 exec, exec, s[4:5]
	v_pk_add_f16 v19, v1, v21 neg_lo:[0,1] neg_hi:[0,1]
	s_mov_b32 s25, 0xbbf7
	v_pk_add_f16 v22, v21, v1
	s_movk_i32 s9, 0x2de8
	v_mul_f16_sdwa v40, v19, s25 dst_sel:DWORD dst_unused:UNUSED_PAD src0_sel:WORD_1 src1_sel:DWORD
	s_mov_b32 s8, 0xbbb2
	v_pk_add_f16 v23, v10, v58 op_sel:[1,0] op_sel_hi:[0,1]
	v_pk_add_f16 v24, v58, v10 op_sel:[1,0] op_sel_hi:[0,1] neg_lo:[0,1] neg_hi:[0,1]
	s_mov_b32 s11, 0xb1e1
	v_fma_f16 v5, v22, s9, v40
	s_mov_b32 s10, 0xb461
	v_mul_f16_sdwa v44, v19, s8 dst_sel:DWORD dst_unused:UNUSED_PAD src0_sel:WORD_1 src1_sel:DWORD
	v_lshrrev_b32_e32 v50, 16, v23
	s_mov_b32 s14, 0xbbdd
	v_mul_f16_sdwa v42, v24, s11 dst_sel:DWORD dst_unused:UNUSED_PAD src0_sel:WORD_1 src1_sel:DWORD
	s_movk_i32 s27, 0x3836
	v_add_f16_e32 v5, v5, v0
	v_fma_f16 v6, v22, s10, v44
	v_fma_f16 v7, v50, s14, v42
	s_mov_b32 s15, 0xbacd
	v_mul_f16_sdwa v49, v24, s27 dst_sel:DWORD dst_unused:UNUSED_PAD src0_sel:WORD_1 src1_sel:DWORD
	v_pk_add_f16 v25, v20, v9 neg_lo:[0,1] neg_hi:[0,1]
	s_movk_i32 s26, 0x3bb2
	v_add_f16_e32 v6, v6, v0
	v_add_f16_e32 v5, v7, v5
	v_fma_f16 v7, v50, s15, v49
	v_pk_add_f16 v26, v9, v20
	v_mul_f16_sdwa v46, v25, s26 dst_sel:DWORD dst_unused:UNUSED_PAD src0_sel:WORD_1 src1_sel:DWORD
	s_movk_i32 s16, 0x3964
	v_add_f16_e32 v6, v7, v6
	v_fma_f16 v7, v26, s10, v46
	s_movk_i32 s18, 0x39e9
	v_mul_f16_sdwa v53, v25, s16 dst_sel:DWORD dst_unused:UNUSED_PAD src0_sel:WORD_1 src1_sel:DWORD
	s_movk_i32 s20, 0x35c8
	v_pk_add_f16 v27, v17, v3 neg_lo:[0,1] neg_hi:[0,1]
	v_add_f16_e32 v5, v7, v5
	v_fma_f16 v7, v26, s18, v53
	s_movk_i32 s17, 0x3b76
	v_pk_add_f16 v31, v3, v17
	v_mul_f16_sdwa v52, v27, s20 dst_sel:DWORD dst_unused:UNUSED_PAD src0_sel:WORD_1 src1_sel:DWORD
	s_mov_b32 s28, 0xbb29
	v_add_f16_e32 v6, v7, v6
	v_fma_f16 v7, v31, s17, v52
	s_movk_i32 s19, 0x3722
	v_mul_f16_sdwa v55, v27, s28 dst_sel:DWORD dst_unused:UNUSED_PAD src0_sel:WORD_1 src1_sel:DWORD
	v_pk_add_f16 v28, v18, v2 neg_lo:[0,1] neg_hi:[0,1]
	v_add_f16_e32 v5, v7, v5
	v_fma_f16 v7, v31, s19, v55
	v_pk_add_f16 v33, v2, v18
	v_mul_f16_sdwa v54, v28, s28 dst_sel:DWORD dst_unused:UNUSED_PAD src0_sel:WORD_1 src1_sel:DWORD
	v_add_f16_e32 v6, v7, v6
	v_fma_f16 v7, v33, s19, v54
	v_mul_f16_sdwa v57, v28, s11 dst_sel:DWORD dst_unused:UNUSED_PAD src0_sel:WORD_1 src1_sel:DWORD
	s_mov_b32 s22, 0xb836
	v_pk_add_f16 v41, v13, v12 neg_lo:[0,1] neg_hi:[0,1]
	v_add_f16_e32 v5, v7, v5
	v_fma_f16 v7, v33, s14, v57
	v_pk_add_f16 v43, v12, v13
	v_mul_f16_sdwa v56, v41, s22 dst_sel:DWORD dst_unused:UNUSED_PAD src0_sel:WORD_1 src1_sel:DWORD
	s_movk_i32 s21, 0x3bf7
	v_add_f16_e32 v6, v7, v6
	v_fma_f16 v7, v43, s15, v56
	v_mul_f16_sdwa v62, v41, s21 dst_sel:DWORD dst_unused:UNUSED_PAD src0_sel:WORD_1 src1_sel:DWORD
	s_movk_i32 s31, 0x3a62
	v_pk_add_f16 v45, v14, v11 neg_lo:[0,1] neg_hi:[0,1]
	v_add_f16_e32 v5, v7, v5
	v_fma_f16 v7, v43, s9, v62
	s_mov_b32 s23, 0xb8d2
	v_pk_add_f16 v48, v11, v14
	v_mul_f16_sdwa v60, v45, s31 dst_sel:DWORD dst_unused:UNUSED_PAD src0_sel:WORD_1 src1_sel:DWORD
	s_mov_b32 s29, 0xb5c8
	v_add_f16_e32 v6, v7, v6
	v_fma_f16 v7, v48, s23, v60
	v_mul_f16_sdwa v66, v45, s29 dst_sel:DWORD dst_unused:UNUSED_PAD src0_sel:WORD_1 src1_sel:DWORD
	v_pk_add_f16 v47, v15, v16 neg_lo:[0,1] neg_hi:[0,1]
	v_add_f16_e32 v5, v7, v5
	v_fma_f16 v7, v48, s17, v66
	s_mov_b32 s24, 0xba62
	v_pk_add_f16 v51, v16, v15
	v_mul_f16_sdwa v67, v47, s16 dst_sel:DWORD dst_unused:UNUSED_PAD src0_sel:WORD_1 src1_sel:DWORD
	v_add_f16_e32 v7, v7, v6
	v_fma_f16 v6, v51, s18, v67
	v_mul_f16_sdwa v78, v47, s24 dst_sel:DWORD dst_unused:UNUSED_PAD src0_sel:WORD_1 src1_sel:DWORD
	v_add_f16_e32 v6, v6, v5
	v_fma_f16 v5, v51, s23, v78
	v_mul_f16_sdwa v59, v19, s29 dst_sel:DWORD dst_unused:UNUSED_PAD src0_sel:WORD_1 src1_sel:DWORD
	s_mov_b32 s33, 0xb964
	v_add_f16_e32 v5, v5, v7
	v_fma_f16 v7, v22, s17, v59
	v_mul_f16_sdwa v61, v24, s33 dst_sel:DWORD dst_unused:UNUSED_PAD src0_sel:WORD_1 src1_sel:DWORD
	v_add_f16_e32 v7, v7, v0
	v_fma_f16 v8, v50, s18, v61
	v_lshrrev_b32_e32 v126, 16, v22
	v_mul_f16_e32 v63, 0xb964, v19
	v_add_f16_e32 v7, v8, v7
	v_fma_f16 v8, v126, s18, -v63
	v_mul_f16_e32 v64, 0xbbf7, v24
	v_add_f16_sdwa v8, v8, v0 dst_sel:DWORD dst_unused:UNUSED_PAD src0_sel:DWORD src1_sel:WORD_1
	v_fma_f16 v32, v23, s9, -v64
	v_mul_f16_sdwa v69, v19, s28 dst_sel:DWORD dst_unused:UNUSED_PAD src0_sel:WORD_1 src1_sel:DWORD
	v_add_f16_e32 v8, v32, v8
	v_fma_f16 v32, v22, s19, v69
	v_mul_f16_sdwa v70, v24, s24 dst_sel:DWORD dst_unused:UNUSED_PAD src0_sel:WORD_1 src1_sel:DWORD
	v_add_f16_e32 v32, v32, v0
	v_fma_f16 v34, v50, s23, v70
	v_mul_f16_e32 v73, 0xbb29, v19
	v_add_f16_e32 v32, v34, v32
	v_fma_f16 v34, v126, s19, -v73
	v_mul_f16_e32 v74, 0xba62, v24
	v_add_f16_sdwa v34, v34, v0 dst_sel:DWORD dst_unused:UNUSED_PAD src0_sel:DWORD src1_sel:WORD_1
	v_fma_f16 v35, v23, s23, -v74
	v_mul_f16_e32 v83, 0xbbf7, v19
	v_add_f16_e32 v34, v35, v34
	v_fma_f16 v35, v126, s9, -v83
	v_mul_f16_e32 v85, 0xb1e1, v24
	v_add_f16_sdwa v35, v35, v0 dst_sel:DWORD dst_unused:UNUSED_PAD src0_sel:DWORD src1_sel:WORD_1
	v_fma_f16 v36, v23, s14, -v85
	;; [unrolled: 6-line block ×3, first 2 shown]
	v_mul_f16_sdwa v65, v25, s28 dst_sel:DWORD dst_unused:UNUSED_PAD src0_sel:WORD_1 src1_sel:DWORD
	v_add_f16_e32 v36, v37, v36
	v_fma_f16 v37, v26, s19, v65
	v_lshrrev_b32_e32 v128, 16, v26
	v_mul_f16_e32 v71, 0xba62, v25
	s_movk_i32 s34, 0x31e1
	v_add_f16_e32 v7, v37, v7
	v_fma_f16 v37, v128, s23, -v71
	v_mul_f16_sdwa v76, v25, s34 dst_sel:DWORD dst_unused:UNUSED_PAD src0_sel:WORD_1 src1_sel:DWORD
	v_add_f16_e32 v8, v37, v8
	v_fma_f16 v37, v26, s14, v76
	v_mul_f16_e32 v81, 0x31e1, v25
	v_add_f16_e32 v32, v37, v32
	v_fma_f16 v37, v128, s14, -v81
	v_mul_f16_e32 v92, 0x3bb2, v25
	v_add_f16_e32 v34, v37, v34
	v_fma_f16 v37, v128, s10, -v92
	v_mul_f16_e32 v105, 0x3964, v25
	v_add_f16_e32 v35, v37, v35
	v_fma_f16 v37, v128, s18, -v105
	v_mul_f16_sdwa v68, v27, s25 dst_sel:DWORD dst_unused:UNUSED_PAD src0_sel:WORD_1 src1_sel:DWORD
	v_add_f16_e32 v36, v37, v36
	v_fma_f16 v37, v31, s9, v68
	v_lshrrev_b32_e32 v129, 16, v31
	v_mul_f16_e32 v75, 0xb1e1, v27
	v_add_f16_e32 v7, v37, v7
	v_fma_f16 v37, v129, s14, -v75
	v_mul_f16_sdwa v80, v27, s26 dst_sel:DWORD dst_unused:UNUSED_PAD src0_sel:WORD_1 src1_sel:DWORD
	v_add_f16_e32 v8, v37, v8
	v_fma_f16 v37, v31, s10, v80
	v_mul_f16_e32 v87, 0x3bb2, v27
	v_add_f16_e32 v32, v37, v32
	v_fma_f16 v37, v129, s10, -v87
	v_mul_f16_e32 v97, 0x35c8, v27
	v_add_f16_e32 v34, v37, v34
	v_fma_f16 v37, v129, s17, -v97
	v_mul_f16_e32 v110, 0xbb29, v27
	v_add_f16_e32 v35, v37, v35
	v_fma_f16 v37, v129, s19, -v110
	v_mul_f16_sdwa v72, v28, s8 dst_sel:DWORD dst_unused:UNUSED_PAD src0_sel:WORD_1 src1_sel:DWORD
	v_add_f16_e32 v36, v37, v36
	v_fma_f16 v37, v33, s10, v72
	v_lshrrev_b32_e32 v131, 16, v33
	v_mul_f16_e32 v79, 0x3836, v28
	;; [unrolled: 19-line block ×4, first 2 shown]
	v_add_f16_e32 v7, v37, v7
	v_fma_f16 v37, v133, s19, -v89
	v_mul_f16_sdwa v93, v45, s25 dst_sel:DWORD dst_unused:UNUSED_PAD src0_sel:WORD_1 src1_sel:DWORD
	v_add_f16_e32 v37, v37, v8
	v_fma_f16 v8, v48, s9, v93
	v_mul_f16_e32 v103, 0xbbf7, v45
	v_add_f16_e32 v8, v8, v32
	v_fma_f16 v32, v133, s9, -v103
	v_mul_f16_e32 v121, 0x3a62, v45
	v_add_f16_e32 v32, v32, v34
	v_fma_f16 v34, v133, s23, -v121
	v_mul_f16_e32 v125, 0xb5c8, v45
	s_mov_b32 s4, 0x3b7639e9
	v_add_f16_e32 v38, v34, v35
	v_fma_f16 v34, v133, s17, -v125
	v_mul_f16_sdwa v88, v47, s11 dst_sel:DWORD dst_unused:UNUSED_PAD src0_sel:WORD_1 src1_sel:DWORD
	s_mov_b32 s5, 0xb964b5c8
	s_mov_b32 s35, 0xbbf7b964
	v_pk_mul_f16 v112, v22, s4
	v_add_f16_e32 v39, v34, v36
	v_fma_f16 v34, v51, s14, v88
	s_mov_b32 s30, 0x2de839e9
	s_mov_b32 s36, 0x3722b8d2
	v_pk_fma_f16 v98, v19, s5, v112 op_sel:[0,0,1] op_sel_hi:[1,1,0]
	v_pk_mul_f16 v113, v24, s35
	v_add_f16_e32 v34, v34, v7
	s_mov_b32 s37, 0xba62bb29
	s_mov_b32 s38, 0x2de8bbdd
	v_pk_fma_f16 v99, v23, s30, v113
	v_add_f16_sdwa v7, v98, v0 dst_sel:DWORD dst_unused:UNUSED_PAD src0_sel:WORD_1 src1_sel:DWORD
	v_pk_mul_f16 v114, v26, s36
	s_mov_b32 s39, 0xb1e1bbf7
	s_mov_b32 s40, 0xb461bacd
	v_add_f16_sdwa v7, v99, v7 dst_sel:DWORD dst_unused:UNUSED_PAD src0_sel:WORD_1 src1_sel:DWORD
	v_pk_fma_f16 v100, v25, s37, v114 op_sel:[0,0,1] op_sel_hi:[1,1,0]
	v_pk_mul_f16 v115, v31, s38
	s_mov_b32 s41, 0x3836bbb2
	s_mov_b32 s42, 0xb8d2b461
	v_add_f16_sdwa v7, v100, v7 dst_sel:DWORD dst_unused:UNUSED_PAD src0_sel:WORD_1 src1_sel:DWORD
	v_pk_fma_f16 v101, v27, s39, v115 op_sel:[0,0,1] op_sel_hi:[1,1,0]
	v_pk_mul_f16 v116, v33, s40
	s_mov_b32 s43, 0x3bb2ba62
	s_mov_b32 s44, 0xbacd3722
	v_add_f16_sdwa v7, v101, v7 dst_sel:DWORD dst_unused:UNUSED_PAD src0_sel:WORD_1 src1_sel:DWORD
	v_pk_fma_f16 v102, v28, s41, v116 op_sel:[0,0,1] op_sel_hi:[1,1,0]
	v_pk_mul_f16 v117, v43, s42
	s_mov_b32 s45, 0x3b29b836
	s_mov_b32 s46, 0xbbdd3b76
	v_add_f16_sdwa v7, v102, v7 dst_sel:DWORD dst_unused:UNUSED_PAD src0_sel:WORD_1 src1_sel:DWORD
	v_pk_fma_f16 v106, v41, s43, v117 op_sel:[0,0,1] op_sel_hi:[1,1,0]
	v_pk_mul_f16 v118, v48, s44
	s_mov_b32 s47, 0x35c8b1e1
	v_add_f16_sdwa v7, v106, v7 dst_sel:DWORD dst_unused:UNUSED_PAD src0_sel:WORD_1 src1_sel:DWORD
	v_pk_fma_f16 v107, v45, s45, v118 op_sel:[0,0,1] op_sel_hi:[1,1,0]
	v_mul_f16_sdwa v119, v47, s22 dst_sel:DWORD dst_unused:UNUSED_PAD src0_sel:WORD_1 src1_sel:DWORD
	v_pk_mul_f16 v120, v51, s46
	v_lshrrev_b32_e32 v134, 16, v51
	v_mul_f16_e32 v124, 0xb836, v47
	v_add_f16_sdwa v35, v107, v7 dst_sel:DWORD dst_unused:UNUSED_PAD src0_sel:WORD_1 src1_sel:DWORD
	v_fma_f16 v7, v51, s15, v119
	v_pk_fma_f16 v108, v47, s47, v120 op_sel:[0,0,1] op_sel_hi:[1,1,0]
	v_mul_f16_e32 v111, 0x35c8, v47
	v_fma_f16 v36, v134, s15, -v124
	v_mul_f16_e32 v127, 0x3964, v47
	v_add_f16_e32 v7, v7, v8
	v_add_f16_sdwa v8, v108, v35 dst_sel:DWORD dst_unused:UNUSED_PAD src0_sel:WORD_1 src1_sel:DWORD
	v_fma_f16 v35, v134, s17, -v111
	v_add_f16_e32 v36, v36, v32
	v_fma_f16 v32, v134, s18, -v127
	v_mul_f16_e32 v130, 0xba62, v47
	v_add_f16_e32 v35, v35, v37
	v_add_f16_e32 v37, v32, v38
	v_fma_f16 v32, v134, s23, -v130
	v_pk_fma_f16 v112, v19, s5, v112 op_sel:[0,0,1] op_sel_hi:[1,1,0] neg_lo:[1,0,0] neg_hi:[1,0,0]
	v_add_f16_e32 v38, v32, v39
	v_pk_fma_f16 v113, v23, s30, v113 neg_lo:[0,0,1] neg_hi:[0,0,1]
	v_add_f16_sdwa v32, v112, v0 dst_sel:DWORD dst_unused:UNUSED_PAD src0_sel:DWORD src1_sel:WORD_1
	v_pk_fma_f16 v114, v25, s37, v114 op_sel:[0,0,1] op_sel_hi:[1,1,0] neg_lo:[1,0,0] neg_hi:[1,0,0]
	v_add_f16_e32 v32, v113, v32
	v_pk_fma_f16 v115, v27, s39, v115 op_sel:[0,0,1] op_sel_hi:[1,1,0] neg_lo:[1,0,0] neg_hi:[1,0,0]
	v_add_f16_e32 v32, v114, v32
	;; [unrolled: 2-line block ×6, first 2 shown]
	s_movk_i32 s30, 0x3b29
	v_add_f16_e32 v39, v120, v32
	v_mul_lo_u16_e32 v32, 17, v29
	s_waitcnt lgkmcnt(0)
	; wave barrier
	s_waitcnt lgkmcnt(0)
	s_and_saveexec_b64 s[4:5], vcc
	s_cbranch_execz .LBB0_7
; %bb.6:
	v_mul_f16_e32 v200, 0xb8d2, v126
	v_fma_f16 v201, v19, s31, v200
	v_mul_f16_e32 v202, 0xb461, v23
	v_add_f16_sdwa v201, v201, v0 dst_sel:DWORD dst_unused:UNUSED_PAD src0_sel:DWORD src1_sel:WORD_1
	v_fma_f16 v203, v24, s8, v202
	v_add_f16_e32 v201, v203, v201
	v_mul_f16_e32 v203, 0x3b76, v128
	v_fma_f16 v204, v25, s20, v203
	v_add_f16_e32 v201, v204, v201
	v_mul_f16_e32 v204, 0xbacd, v129
	v_fma_f16 v205, v27, s27, v204
	v_add_f16_e32 v201, v205, v201
	v_mul_f16_e32 v205, 0x2de8, v131
	v_fma_f16 v206, v28, s25, v205
	v_add_f16_e32 v201, v206, v201
	v_mul_f16_e32 v206, 0x39e9, v132
	v_fma_f16 v207, v41, s16, v206
	v_add_f16_e32 v201, v207, v201
	v_mul_f16_e32 v207, 0xbbdd, v133
	v_fma_f16 v208, v45, s34, v207
	v_add_f16_e32 v201, v208, v201
	v_mul_f16_e32 v208, 0x3722, v134
	v_fma_f16 v209, v47, s28, v208
	v_add_f16_e32 v201, v209, v201
	v_mul_f16_sdwa v209, v19, s24 dst_sel:DWORD dst_unused:UNUSED_PAD src0_sel:WORD_1 src1_sel:DWORD
	v_fma_f16 v210, v22, s23, v209
	v_mul_f16_sdwa v211, v24, s26 dst_sel:DWORD dst_unused:UNUSED_PAD src0_sel:WORD_1 src1_sel:DWORD
	v_add_f16_e32 v210, v210, v0
	v_fma_f16 v212, v50, s10, v211
	v_add_f16_e32 v210, v212, v210
	v_mul_f16_sdwa v212, v25, s29 dst_sel:DWORD dst_unused:UNUSED_PAD src0_sel:WORD_1 src1_sel:DWORD
	v_fma_f16 v213, v26, s17, v212
	v_add_f16_e32 v210, v213, v210
	v_mul_f16_sdwa v213, v27, s22 dst_sel:DWORD dst_unused:UNUSED_PAD src0_sel:WORD_1 src1_sel:DWORD
	;; [unrolled: 3-line block ×5, first 2 shown]
	v_fma_f16 v217, v48, s14, v216
	v_mul_f16_e32 v140, 0x2de8, v22
	v_add_f16_e32 v210, v217, v210
	v_mul_f16_sdwa v217, v47, s30 dst_sel:DWORD dst_unused:UNUSED_PAD src0_sel:WORD_1 src1_sel:DWORD
	v_mul_f16_e32 v137, 0x39e9, v126
	v_mul_f16_e32 v139, 0x3722, v126
	;; [unrolled: 1-line block ×5, first 2 shown]
	v_fma_f16 v218, v51, s19, v217
	v_mul_f16_e32 v126, 0xbacd, v126
	v_sub_f16_e32 v40, v140, v40
	v_mul_f16_e32 v156, 0xb461, v26
	v_add_f16_e32 v210, v218, v210
	v_fma_f16 v218, v19, s27, v126
	v_mul_f16_e32 v219, 0x3722, v23
	v_add_f16_e32 v40, v40, v0
	v_sub_f16_e32 v42, v148, v42
	v_mul_f16_e32 v153, 0xb8d2, v128
	v_mul_f16_e32 v155, 0xbbdd, v128
	;; [unrolled: 1-line block ×5, first 2 shown]
	v_add_f16_sdwa v218, v218, v0 dst_sel:DWORD dst_unused:UNUSED_PAD src0_sel:DWORD src1_sel:WORD_1
	v_fma_f16 v220, v24, s28, v219
	v_mul_f16_e32 v128, 0x2de8, v128
	v_add_f16_e32 v40, v42, v40
	v_sub_f16_e32 v42, v156, v46
	v_mul_f16_e32 v161, 0xbbdd, v129
	v_mul_f16_e32 v163, 0xb461, v129
	v_mul_f16_e32 v165, 0x3b76, v129
	v_mul_f16_e32 v167, 0x3722, v129
	v_mul_f16_e32 v172, 0x3722, v33
	v_add_f16_e32 v218, v220, v218
	v_fma_f16 v220, v25, s21, v128
	v_mul_f16_e32 v129, 0xb8d2, v129
	v_add_f16_e32 v40, v42, v40
	v_sub_f16_e32 v42, v164, v52
	v_mul_f16_e32 v169, 0xbacd, v131
	v_mul_f16_e32 v171, 0x39e9, v131
	v_mul_f16_e32 v173, 0x3722, v131
	v_mul_f16_e32 v175, 0xbbdd, v131
	v_mul_f16_e32 v180, 0xbacd, v43
	v_add_f16_e32 v218, v220, v218
	;; [unrolled: 10-line block ×4, first 2 shown]
	v_fma_f16 v220, v41, s34, v132
	v_mul_f16_e32 v133, 0x39e9, v133
	v_add_f16_e32 v40, v42, v40
	v_sub_f16_e32 v42, v188, v60
	v_mul_f16_e32 v193, 0x3b76, v134
	v_mul_f16_e32 v195, 0xbacd, v134
	;; [unrolled: 1-line block ×4, first 2 shown]
	v_add_f16_e32 v218, v220, v218
	v_fma_f16 v220, v45, s33, v133
	v_mul_f16_e32 v134, 0xb461, v134
	v_add_f16_e32 v40, v42, v40
	v_sub_f16_e32 v42, v196, v67
	v_mul_f16_e32 v142, 0xb461, v22
	v_mul_f16_e32 v147, 0xb8d2, v23
	v_add_f16_e32 v218, v220, v218
	v_fma_f16 v220, v47, s26, v134
	v_fma_f16 v126, v19, s22, v126
	v_add_f16_e32 v40, v42, v40
	v_add_f16_e32 v42, v73, v139
	v_mul_f16_e32 v150, 0xbacd, v50
	v_add_f16_e32 v218, v220, v218
	v_mul_f16_sdwa v220, v19, s22 dst_sel:DWORD dst_unused:UNUSED_PAD src0_sel:WORD_1 src1_sel:DWORD
	v_add_f16_sdwa v126, v126, v0 dst_sel:DWORD dst_unused:UNUSED_PAD src0_sel:DWORD src1_sel:WORD_1
	v_fma_f16 v219, v24, s30, v219
	v_sub_f16_e32 v44, v142, v44
	v_add_f16_sdwa v42, v42, v0 dst_sel:DWORD dst_unused:UNUSED_PAD src0_sel:DWORD src1_sel:WORD_1
	v_add_f16_e32 v46, v74, v147
	v_mul_f16_e32 v158, 0x39e9, v26
	v_fma_f16 v221, v22, s15, v220
	v_mul_f16_sdwa v222, v24, s30 dst_sel:DWORD dst_unused:UNUSED_PAD src0_sel:WORD_1 src1_sel:DWORD
	v_add_f16_e32 v126, v219, v126
	v_fma_f16 v128, v25, s25, v128
	v_add_f16_e32 v44, v44, v0
	v_sub_f16_e32 v49, v150, v49
	v_add_f16_e32 v42, v46, v42
	v_add_f16_e32 v46, v81, v155
	v_mul_f16_e32 v166, 0x3722, v31
	v_add_f16_e32 v221, v221, v0
	v_fma_f16 v223, v50, s19, v222
	v_add_f16_e32 v126, v128, v126
	v_fma_f16 v128, v27, s31, v129
	v_add_f16_e32 v44, v49, v44
	v_sub_f16_e32 v49, v158, v53
	v_add_f16_e32 v42, v46, v42
	v_add_f16_e32 v46, v87, v163
	v_mul_f16_e32 v174, 0xbbdd, v33
	v_add_f16_e32 v221, v223, v221
	v_mul_f16_sdwa v223, v25, s25 dst_sel:DWORD dst_unused:UNUSED_PAD src0_sel:WORD_1 src1_sel:DWORD
	v_add_f16_e32 v126, v128, v126
	v_fma_f16 v128, v28, s29, v131
	v_add_f16_e32 v44, v49, v44
	v_sub_f16_e32 v49, v166, v55
	v_add_f16_e32 v42, v46, v42
	v_add_f16_e32 v46, v91, v171
	v_mul_f16_e32 v182, 0x2de8, v43
	v_fma_f16 v224, v26, s9, v223
	v_add_f16_e32 v126, v128, v126
	v_fma_f16 v128, v41, s11, v132
	v_add_f16_e32 v44, v49, v44
	v_sub_f16_e32 v49, v174, v57
	v_add_f16_e32 v42, v46, v42
	v_add_f16_e32 v46, v95, v179
	v_mul_f16_e32 v190, 0x3b76, v48
	v_add_f16_e32 v221, v224, v221
	v_mul_f16_sdwa v224, v27, s31 dst_sel:DWORD dst_unused:UNUSED_PAD src0_sel:WORD_1 src1_sel:DWORD
	v_add_f16_e32 v126, v128, v126
	v_fma_f16 v128, v45, s16, v133
	v_add_f16_e32 v44, v49, v44
	v_sub_f16_e32 v49, v182, v62
	v_add_f16_e32 v42, v46, v42
	v_add_f16_e32 v46, v103, v187
	v_mul_f16_e32 v138, 0x3722, v22
	v_mul_f16_e32 v198, 0xb8d2, v51
	v_fma_f16 v225, v31, s23, v224
	v_add_f16_e32 v126, v128, v126
	v_fma_f16 v128, v47, s8, v134
	v_add_f16_e32 v44, v49, v44
	v_sub_f16_e32 v49, v190, v66
	v_add_f16_e32 v42, v46, v42
	v_add_f16_e32 v46, v124, v195
	v_mul_f16_e32 v146, 0xb8d2, v50
	v_add_f16_e32 v221, v225, v221
	v_mul_f16_sdwa v225, v28, s29 dst_sel:DWORD dst_unused:UNUSED_PAD src0_sel:WORD_1 src1_sel:DWORD
	v_add_f16_e32 v126, v128, v126
	v_fma_f16 v128, v22, s15, -v220
	v_add_f16_e32 v44, v49, v44
	v_sub_f16_e32 v49, v198, v78
	v_add_f16_e32 v42, v46, v42
	v_sub_f16_e32 v46, v138, v69
	v_mul_f16_e32 v149, 0xbbdd, v23
	v_mul_f16_e32 v154, 0xbbdd, v26
	v_fma_f16 v226, v33, s17, v225
	v_add_f16_e32 v128, v128, v0
	v_fma_f16 v129, v50, s19, -v222
	v_add_f16_e32 v44, v49, v44
	v_add_f16_e32 v49, v83, v141
	;; [unrolled: 1-line block ×3, first 2 shown]
	v_sub_f16_e32 v52, v146, v70
	v_mul_f16_e32 v162, 0xb461, v31
	v_add_f16_e32 v221, v226, v221
	v_mul_f16_sdwa v226, v41, s11 dst_sel:DWORD dst_unused:UNUSED_PAD src0_sel:WORD_1 src1_sel:DWORD
	v_add_f16_e32 v128, v129, v128
	v_fma_f16 v129, v26, s9, -v223
	v_add_f16_sdwa v49, v49, v0 dst_sel:DWORD dst_unused:UNUSED_PAD src0_sel:DWORD src1_sel:WORD_1
	v_add_f16_e32 v53, v85, v149
	v_add_f16_e32 v46, v52, v46
	v_sub_f16_e32 v52, v154, v76
	v_mul_f16_e32 v170, 0x39e9, v33
	v_fma_f16 v227, v43, s14, v226
	v_add_f16_e32 v128, v129, v128
	v_fma_f16 v129, v31, s23, -v224
	v_add_f16_e32 v49, v53, v49
	v_add_f16_e32 v53, v92, v157
	;; [unrolled: 1-line block ×3, first 2 shown]
	v_sub_f16_e32 v52, v162, v80
	v_mul_f16_e32 v178, 0x3b76, v43
	v_add_f16_e32 v221, v227, v221
	v_mul_f16_sdwa v227, v45, s16 dst_sel:DWORD dst_unused:UNUSED_PAD src0_sel:WORD_1 src1_sel:DWORD
	v_add_f16_e32 v128, v129, v128
	v_fma_f16 v129, v33, s17, -v225
	v_add_f16_e32 v49, v53, v49
	v_add_f16_e32 v53, v97, v165
	;; [unrolled: 1-line block ×3, first 2 shown]
	v_sub_f16_e32 v52, v170, v86
	v_alignbit_b32 v135, v0, v0, 16
	v_mul_f16_e32 v186, 0x2de8, v48
	v_fma_f16 v228, v48, s18, v227
	v_add_f16_e32 v128, v129, v128
	v_fma_f16 v129, v43, s14, -v226
	v_add_f16_e32 v49, v53, v49
	v_add_f16_e32 v53, v104, v173
	;; [unrolled: 1-line block ×3, first 2 shown]
	v_sub_f16_e32 v52, v178, v90
	v_alignbit_b32 v58, v58, v58, 16
	v_mul_f16_e32 v194, 0xbacd, v51
	v_add_f16_e32 v221, v228, v221
	v_mul_f16_sdwa v228, v47, s8 dst_sel:DWORD dst_unused:UNUSED_PAD src0_sel:WORD_1 src1_sel:DWORD
	v_add_f16_e32 v128, v129, v128
	v_fma_f16 v129, v48, s18, -v227
	v_add_f16_e32 v49, v53, v49
	v_add_f16_e32 v53, v109, v181
	;; [unrolled: 1-line block ×3, first 2 shown]
	v_sub_f16_e32 v52, v186, v93
	v_pk_add_f16 v1, v1, v135 op_sel:[0,1] op_sel_hi:[1,0]
	v_add_f16_e32 v128, v129, v128
	v_fma_f16 v129, v51, s10, -v228
	v_add_f16_e32 v49, v53, v49
	v_add_f16_e32 v53, v121, v189
	;; [unrolled: 1-line block ×3, first 2 shown]
	v_sub_f16_e32 v52, v194, v119
	v_pk_add_f16 v1, v58, v1
	v_mul_f16_e32 v145, 0x2de8, v23
	v_add_f16_e32 v128, v129, v128
	v_fma_f16 v129, v19, s24, v200
	v_add_f16_e32 v49, v53, v49
	v_add_f16_e32 v53, v127, v197
	;; [unrolled: 1-line block ×4, first 2 shown]
	v_pk_add_f16 v1, v20, v1
	v_add_f16_sdwa v129, v129, v0 dst_sel:DWORD dst_unused:UNUSED_PAD src0_sel:DWORD src1_sel:WORD_1
	v_fma_f16 v131, v24, s26, v202
	v_add_f16_e32 v49, v53, v49
	v_add_f16_sdwa v52, v52, v0 dst_sel:DWORD dst_unused:UNUSED_PAD src0_sel:DWORD src1_sel:WORD_1
	v_add_f16_e32 v53, v64, v145
	v_pk_add_f16 v1, v17, v1
	v_add_f16_e32 v129, v131, v129
	v_fma_f16 v131, v25, s29, v203
	v_add_f16_e32 v52, v53, v52
	v_add_f16_e32 v53, v71, v153
	v_pk_add_f16 v1, v18, v1
	v_add_f16_e32 v129, v131, v129
	v_fma_f16 v131, v27, s22, v204
	v_add_f16_e32 v52, v53, v52
	;; [unrolled: 5-line block ×5, first 2 shown]
	v_add_f16_e32 v53, v89, v185
	v_pk_add_f16 v1, v16, v1
	v_mul_f16_e32 v136, 0x3b76, v22
	v_add_f16_e32 v129, v131, v129
	v_fma_f16 v131, v47, s30, v208
	v_add_f16_e32 v52, v53, v52
	v_add_f16_e32 v53, v111, v193
	s_mov_b32 s25, 0xffff
	v_pk_add_f16 v1, v11, v1
	v_mul_f16_e32 v144, 0x39e9, v50
	v_add_f16_e32 v129, v131, v129
	v_fma_f16 v131, v22, s23, -v209
	v_add_f16_e32 v94, v94, v143
	v_add_f16_e32 v52, v53, v52
	v_bfi_b32 v53, s25, v98, v112
	v_sub_f16_e32 v59, v136, v59
	v_pk_add_f16 v1, v12, v1
	v_mul_f16_e32 v152, 0x3722, v26
	v_add_f16_e32 v131, v131, v0
	v_add_f16_sdwa v94, v94, v0 dst_sel:DWORD dst_unused:UNUSED_PAD src0_sel:DWORD src1_sel:WORD_1
	v_bfi_b32 v54, s25, v99, v113
	v_add_f16_e32 v0, v59, v0
	v_sub_f16_e32 v59, v144, v61
	v_pk_add_f16 v1, v2, v1
	v_pk_add_f16 v2, v53, v135
	v_mul_f16_e32 v151, 0xbacd, v23
	v_mul_f16_e32 v160, 0x2de8, v31
	v_bfi_b32 v55, s25, v100, v114
	v_add_f16_e32 v0, v59, v0
	v_sub_f16_e32 v59, v152, v65
	v_pk_add_f16 v2, v54, v2
	v_mul_f16_e32 v168, 0xb461, v33
	v_fma_f16 v50, v50, s10, -v211
	v_add_f16_e32 v96, v96, v151
	v_bfi_b32 v56, s25, v101, v115
	v_add_f16_e32 v0, v59, v0
	v_sub_f16_e32 v59, v160, v68
	v_pk_add_f16 v2, v55, v2
	v_mul_f16_e32 v176, 0xb8d2, v43
	v_add_f16_e32 v50, v50, v131
	v_fma_f16 v131, v26, s17, -v212
	v_add_f16_e32 v94, v96, v94
	v_add_f16_e32 v96, v105, v159
	v_bfi_b32 v57, s25, v102, v116
	v_add_f16_e32 v0, v59, v0
	v_sub_f16_e32 v59, v168, v72
	v_pk_add_f16 v2, v56, v2
	v_mul_f16_e32 v184, 0xbacd, v48
	v_add_f16_e32 v50, v131, v50
	v_fma_f16 v131, v31, s15, -v213
	v_add_f16_e32 v94, v96, v94
	;; [unrolled: 9-line block ×3, first 2 shown]
	v_add_f16_e32 v96, v122, v175
	v_bfi_b32 v62, s25, v107, v118
	v_add_f16_e32 v0, v59, v0
	v_sub_f16_e32 v59, v184, v82
	v_pk_add_f16 v2, v60, v2
	v_add_f16_e32 v50, v131, v50
	v_fma_f16 v131, v43, s18, -v215
	v_add_f16_e32 v94, v96, v94
	v_add_f16_e32 v96, v123, v183
	v_bfi_b32 v63, s25, v108, v120
	v_add_f16_e32 v0, v59, v0
	v_sub_f16_e32 v59, v192, v88
	v_pk_add_f16 v2, v62, v2
	v_add_f16_e32 v50, v131, v50
	v_fma_f16 v131, v48, s14, -v216
	v_add_f16_e32 v94, v96, v94
	v_add_f16_e32 v96, v125, v191
	;; [unrolled: 1-line block ×3, first 2 shown]
	v_pk_add_f16 v2, v63, v2
	v_add_f16_e32 v50, v131, v50
	v_fma_f16 v131, v51, s19, -v217
	v_add_f16_e32 v94, v96, v94
	v_add_f16_e32 v96, v130, v199
	v_lshlrev_b32_e32 v17, 2, v32
	v_pk_add_f16 v1, v3, v1
	v_alignbit_b32 v3, v52, v2, 16
	v_pack_b32_f16 v0, v0, v2
	v_add_f16_e32 v50, v131, v50
	v_add_f16_e32 v94, v96, v94
	v_pk_add_f16 v1, v9, v1
	ds_write2_b32 v17, v0, v3 offset0:1 offset1:2
	v_pack_b32_f16 v0, v40, v49
	v_pack_b32_f16 v2, v46, v42
	v_pk_add_f16 v1, v10, v1
	ds_write2_b32 v17, v2, v0 offset0:3 offset1:4
	v_pack_b32_f16 v0, v44, v94
	v_pack_b32_f16 v2, v50, v129
	v_pk_add_f16 v1, v21, v1
	ds_write2_b32 v17, v0, v2 offset0:5 offset1:6
	v_pack_b32_f16 v0, v128, v126
	ds_write2_b32 v17, v1, v0 offset1:7
	v_pk_mul_f16 v0, v22, s14 op_sel_hi:[1,0]
	v_pk_fma_f16 v1, v19, s11, v0 op_sel:[0,0,1] op_sel_hi:[1,0,0] neg_lo:[1,0,0] neg_hi:[1,0,0]
	v_pk_mul_f16 v2, v24, s20 op_sel_hi:[1,0]
	v_pk_add_f16 v1, v1, v135
	v_pk_fma_f16 v3, v23, s17, v2 op_sel_hi:[1,0,1] neg_lo:[0,0,1] neg_hi:[0,0,1]
	v_pk_add_f16 v1, v3, v1
	v_pk_mul_f16 v3, v26, s15 op_sel_hi:[1,0]
	v_pk_fma_f16 v9, v25, s22, v3 op_sel:[0,0,1] op_sel_hi:[1,0,0] neg_lo:[1,0,0] neg_hi:[1,0,0]
	v_pk_add_f16 v1, v9, v1
	v_pk_mul_f16 v9, v31, s18 op_sel_hi:[1,0]
	v_pk_fma_f16 v10, v27, s16, v9 op_sel:[0,0,1] op_sel_hi:[1,0,0] neg_lo:[1,0,0] neg_hi:[1,0,0]
	v_pk_add_f16 v1, v10, v1
	v_pk_mul_f16 v10, v33, s23 op_sel_hi:[1,0]
	v_pk_fma_f16 v0, v19, s11, v0 op_sel:[0,0,1] op_sel_hi:[1,0,0]
	v_pk_fma_f16 v11, v28, s24, v10 op_sel:[0,0,1] op_sel_hi:[1,0,0] neg_lo:[1,0,0] neg_hi:[1,0,0]
	v_pk_add_f16 v0, v0, v135
	v_pk_fma_f16 v2, v23, s17, v2 op_sel_hi:[1,0,1]
	v_pk_add_f16 v1, v11, v1
	v_pk_mul_f16 v11, v43, s19 op_sel_hi:[1,0]
	v_pk_add_f16 v0, v2, v0
	v_pk_fma_f16 v2, v25, s22, v3 op_sel:[0,0,1] op_sel_hi:[1,0,0]
	v_pk_fma_f16 v12, v41, s30, v11 op_sel:[0,0,1] op_sel_hi:[1,0,0] neg_lo:[1,0,0] neg_hi:[1,0,0]
	v_pk_add_f16 v0, v2, v0
	v_pk_fma_f16 v2, v27, s16, v9 op_sel:[0,0,1] op_sel_hi:[1,0,0]
	v_pk_add_f16 v1, v12, v1
	v_pk_mul_f16 v12, v48, s10 op_sel_hi:[1,0]
	v_pk_add_f16 v0, v2, v0
	v_pk_fma_f16 v2, v28, s24, v10 op_sel:[0,0,1] op_sel_hi:[1,0,0]
	v_pk_fma_f16 v13, v45, s8, v12 op_sel:[0,0,1] op_sel_hi:[1,0,0] neg_lo:[1,0,0] neg_hi:[1,0,0]
	v_pk_add_f16 v0, v2, v0
	v_pk_fma_f16 v2, v41, s30, v11 op_sel:[0,0,1] op_sel_hi:[1,0,0]
	;; [unrolled: 7-line block ×3, first 2 shown]
	v_fma_f16 v229, v51, s10, v228
	v_pk_add_f16 v1, v14, v1
	v_pk_add_f16 v0, v2, v0
	v_add_f16_e32 v221, v229, v221
	v_alignbit_b32 v2, v1, v0, 16
	v_alignbit_b32 v0, v0, v1, 16
	ds_write2_b32 v17, v0, v2 offset0:8 offset1:9
	v_pack_b32_f16 v0, v210, v201
	v_pack_b32_f16 v1, v221, v218
	s_mov_b32 s8, 0x5040100
	ds_write2_b32 v17, v1, v0 offset0:10 offset1:11
	v_perm_b32 v0, v37, v6, s8
	v_perm_b32 v1, v38, v5, s8
	ds_write2_b32 v17, v1, v0 offset0:12 offset1:13
	v_perm_b32 v0, v35, v8, s8
	v_perm_b32 v1, v36, v7, s8
	ds_write2_b32 v17, v1, v0 offset0:14 offset1:15
	v_perm_b32 v0, v39, v34, s8
	ds_write_b32 v17, v0 offset:64
.LBB0_7:
	s_or_b64 exec, exec, s[4:5]
	s_load_dwordx4 s[8:11], s[2:3], 0x0
	s_movk_i32 s2, 0xf1
	v_mul_lo_u16_sdwa v0, v29, s2 dst_sel:DWORD dst_unused:UNUSED_PAD src0_sel:BYTE_0 src1_sel:DWORD
	v_lshrrev_b16_e32 v25, 12, v0
	v_mul_lo_u16_e32 v0, 17, v25
	v_sub_u16_e32 v26, v29, v0
	v_lshlrev_b16_e32 v0, 1, v26
	v_add_u16_e32 v1, 51, v29
	v_and_b32_e32 v0, 0xfe, v0
	v_mul_lo_u16_sdwa v2, v1, s2 dst_sel:DWORD dst_unused:UNUSED_PAD src0_sel:BYTE_0 src1_sel:DWORD
	v_lshlrev_b32_e32 v0, 2, v0
	v_lshrrev_b16_e32 v27, 12, v2
	s_waitcnt lgkmcnt(0)
	; wave barrier
	s_waitcnt lgkmcnt(0)
	v_mul_lo_u16_e32 v2, 17, v27
	global_load_dwordx2 v[11:12], v0, s[0:1]
	v_sub_u16_e32 v1, v1, v2
	v_and_b32_e32 v28, 0xff, v1
	v_lshlrev_b32_e32 v1, 3, v28
	global_load_dwordx2 v[15:16], v1, s[0:1]
	v_add_u16_e32 v2, 0x66, v29
	v_mul_lo_u16_sdwa v3, v2, s2 dst_sel:DWORD dst_unused:UNUSED_PAD src0_sel:BYTE_0 src1_sel:DWORD
	v_lshrrev_b16_e32 v31, 12, v3
	v_mul_lo_u16_e32 v3, 17, v31
	v_sub_u16_e32 v2, v2, v3
	v_and_b32_e32 v40, 0xff, v2
	v_lshlrev_b32_e32 v0, 3, v40
	v_add_u16_e32 v2, 0x99, v29
	v_mul_lo_u16_sdwa v1, v2, s2 dst_sel:DWORD dst_unused:UNUSED_PAD src0_sel:BYTE_0 src1_sel:DWORD
	global_load_dwordx2 v[13:14], v0, s[0:1]
	v_lshrrev_b16_e32 v44, 12, v1
	v_mul_lo_u16_e32 v1, 17, v44
	v_sub_u16_e32 v0, v2, v1
	v_and_b32_e32 v45, 0xff, v0
	v_lshlrev_b32_e32 v0, 3, v45
	global_load_dwordx2 v[9:10], v0, s[0:1]
	v_mov_b32_e32 v41, 2
	v_lshlrev_b32_sdwa v33, v41, v29 dst_sel:DWORD dst_unused:UNUSED_PAD src0_sel:DWORD src1_sel:WORD_0
	ds_read2_b32 v[0:1], v33 offset1:51
	ds_read2_b32 v[2:3], v33 offset0:204 offset1:255
	v_add_u32_e32 v63, 0x400, v33
	ds_read2_b32 v[17:18], v33 offset0:102 offset1:153
	v_add_u32_e32 v64, 0x600, v33
	ds_read2_b32 v[19:20], v63 offset0:152 offset1:203
	ds_read2_b32 v[21:22], v63 offset0:50 offset1:101
	;; [unrolled: 1-line block ×3, first 2 shown]
	s_waitcnt lgkmcnt(4)
	v_lshrrev_b32_e32 v43, 16, v2
	v_lshrrev_b32_e32 v42, 16, v0
	s_waitcnt lgkmcnt(2)
	v_lshrrev_b32_e32 v50, 16, v19
	v_lshrrev_b32_e32 v47, 16, v3
	s_movk_i32 s3, 0x3aee
	s_mov_b32 s2, 0xbaee
	v_lshrrev_b32_e32 v51, 16, v20
	v_lshrrev_b32_e32 v46, 16, v1
	s_waitcnt lgkmcnt(1)
	v_lshrrev_b32_e32 v52, 16, v21
	s_waitcnt lgkmcnt(0)
	v_lshrrev_b32_e32 v53, 16, v23
	v_lshrrev_b32_e32 v48, 16, v17
	v_lshrrev_b32_e32 v54, 16, v22
	v_lshrrev_b32_e32 v55, 16, v24
	v_lshrrev_b32_e32 v49, 16, v18
	v_mad_legacy_u16 v25, v25, 51, v26
	v_lshlrev_b32_sdwa v41, v41, v25 dst_sel:DWORD dst_unused:UNUSED_PAD src0_sel:DWORD src1_sel:BYTE_0
	s_waitcnt lgkmcnt(0)
	; wave barrier
	s_waitcnt vmcnt(3)
	v_mul_f16_sdwa v56, v43, v11 dst_sel:DWORD dst_unused:UNUSED_PAD src0_sel:DWORD src1_sel:WORD_1
	v_mul_f16_sdwa v58, v50, v12 dst_sel:DWORD dst_unused:UNUSED_PAD src0_sel:DWORD src1_sel:WORD_1
	;; [unrolled: 1-line block ×4, first 2 shown]
	v_fma_f16 v2, v2, v11, -v56
	v_fma_f16 v19, v19, v12, -v58
	v_fma_f16 v43, v43, v11, v57
	v_fma_f16 v50, v50, v12, v59
	v_add_f16_e32 v57, v2, v19
	v_add_f16_e32 v56, v0, v2
	v_fma_f16 v0, v57, -0.5, v0
	v_sub_f16_e32 v57, v43, v50
	s_waitcnt vmcnt(2)
	v_mul_f16_sdwa v60, v47, v15 dst_sel:DWORD dst_unused:UNUSED_PAD src0_sel:DWORD src1_sel:WORD_1
	v_fma_f16 v58, v57, s3, v0
	v_fma_f16 v0, v57, s2, v0
	v_add_f16_e32 v57, v42, v43
	v_add_f16_e32 v43, v43, v50
	v_mul_f16_sdwa v61, v3, v15 dst_sel:DWORD dst_unused:UNUSED_PAD src0_sel:DWORD src1_sel:WORD_1
	v_mul_f16_sdwa v62, v51, v16 dst_sel:DWORD dst_unused:UNUSED_PAD src0_sel:DWORD src1_sel:WORD_1
	v_fma_f16 v3, v3, v15, -v60
	v_fma_f16 v42, v43, -0.5, v42
	v_sub_f16_e32 v2, v2, v19
	v_mul_f16_sdwa v65, v20, v16 dst_sel:DWORD dst_unused:UNUSED_PAD src0_sel:DWORD src1_sel:WORD_1
	v_fma_f16 v20, v20, v16, -v62
	v_add_f16_e32 v56, v56, v19
	v_fma_f16 v19, v2, s2, v42
	v_fma_f16 v2, v2, s3, v42
	v_add_f16_e32 v42, v1, v3
	v_fma_f16 v47, v47, v15, v61
	v_fma_f16 v51, v51, v16, v65
	v_add_f16_e32 v43, v42, v20
	v_add_f16_e32 v42, v3, v20
	v_fma_f16 v1, v42, -0.5, v1
	v_sub_f16_e32 v42, v47, v51
	v_add_f16_e32 v57, v57, v50
	v_fma_f16 v50, v42, s3, v1
	v_fma_f16 v1, v42, s2, v1
	v_add_f16_e32 v42, v46, v47
	s_waitcnt vmcnt(1)
	v_mul_f16_sdwa v66, v52, v13 dst_sel:DWORD dst_unused:UNUSED_PAD src0_sel:DWORD src1_sel:WORD_1
	v_add_f16_e32 v59, v42, v51
	v_add_f16_e32 v42, v47, v51
	v_mul_f16_sdwa v67, v21, v13 dst_sel:DWORD dst_unused:UNUSED_PAD src0_sel:DWORD src1_sel:WORD_1
	v_mul_f16_sdwa v68, v53, v14 dst_sel:DWORD dst_unused:UNUSED_PAD src0_sel:DWORD src1_sel:WORD_1
	v_fma_f16 v21, v21, v13, -v66
	v_fma_f16 v42, v42, -0.5, v46
	v_sub_f16_e32 v3, v3, v20
	v_mul_f16_sdwa v69, v23, v14 dst_sel:DWORD dst_unused:UNUSED_PAD src0_sel:DWORD src1_sel:WORD_1
	v_fma_f16 v23, v23, v14, -v68
	v_fma_f16 v20, v3, s2, v42
	v_fma_f16 v3, v3, s3, v42
	v_add_f16_e32 v42, v17, v21
	v_fma_f16 v52, v52, v13, v67
	v_fma_f16 v53, v53, v14, v69
	v_add_f16_e32 v46, v42, v23
	v_add_f16_e32 v42, v21, v23
	v_fma_f16 v17, v42, -0.5, v17
	v_sub_f16_e32 v42, v52, v53
	v_fma_f16 v47, v42, s3, v17
	v_fma_f16 v17, v42, s2, v17
	v_add_f16_e32 v42, v48, v52
	s_waitcnt vmcnt(0)
	v_mul_f16_sdwa v70, v54, v9 dst_sel:DWORD dst_unused:UNUSED_PAD src0_sel:DWORD src1_sel:WORD_1
	v_add_f16_e32 v51, v42, v53
	v_add_f16_e32 v42, v52, v53
	v_mul_f16_sdwa v71, v22, v9 dst_sel:DWORD dst_unused:UNUSED_PAD src0_sel:DWORD src1_sel:WORD_1
	v_mul_f16_sdwa v72, v55, v10 dst_sel:DWORD dst_unused:UNUSED_PAD src0_sel:DWORD src1_sel:WORD_1
	v_fma_f16 v22, v22, v9, -v70
	v_fma_f16 v42, v42, -0.5, v48
	v_sub_f16_e32 v21, v21, v23
	v_mul_f16_sdwa v73, v24, v10 dst_sel:DWORD dst_unused:UNUSED_PAD src0_sel:DWORD src1_sel:WORD_1
	v_fma_f16 v24, v24, v10, -v72
	v_fma_f16 v23, v21, s2, v42
	v_fma_f16 v21, v21, s3, v42
	v_add_f16_e32 v42, v18, v22
	v_fma_f16 v54, v54, v9, v71
	v_fma_f16 v55, v55, v10, v73
	v_add_f16_e32 v48, v42, v24
	v_add_f16_e32 v42, v22, v24
	v_fma_f16 v18, v42, -0.5, v18
	v_sub_f16_e32 v42, v54, v55
	v_fma_f16 v52, v42, s3, v18
	v_fma_f16 v18, v42, s2, v18
	v_add_f16_e32 v42, v49, v54
	v_add_f16_e32 v53, v42, v55
	;; [unrolled: 1-line block ×3, first 2 shown]
	v_pack_b32_f16 v0, v0, v2
	v_fma_f16 v42, v42, -0.5, v49
	v_sub_f16_e32 v22, v22, v24
	ds_write_b32 v41, v0 offset:136
	v_mul_u32_u24_e32 v0, 51, v27
	v_fma_f16 v24, v22, s2, v42
	v_fma_f16 v22, v22, s3, v42
	v_pack_b32_f16 v25, v56, v57
	v_pack_b32_f16 v19, v58, v19
	v_add_lshl_u32 v42, v0, v28, 2
	v_pack_b32_f16 v0, v43, v59
	v_pack_b32_f16 v2, v50, v20
	ds_write2_b32 v41, v25, v19 offset1:17
	ds_write2_b32 v42, v0, v2 offset1:17
	v_pack_b32_f16 v0, v1, v3
	ds_write_b32 v42, v0 offset:136
	v_mul_u32_u24_e32 v0, 51, v31
	v_add_lshl_u32 v43, v0, v40, 2
	v_pack_b32_f16 v0, v46, v51
	v_pack_b32_f16 v1, v47, v23
	ds_write2_b32 v43, v0, v1 offset1:17
	v_pack_b32_f16 v0, v17, v21
	ds_write_b32 v43, v0 offset:136
	v_mul_u32_u24_e32 v0, 51, v44
	v_add_lshl_u32 v44, v0, v45, 2
	v_pack_b32_f16 v0, v48, v53
	v_pack_b32_f16 v1, v52, v24
	ds_write2_b32 v44, v0, v1 offset1:17
	v_pack_b32_f16 v0, v18, v22
	v_mad_u64_u32 v[17:18], s[0:1], v29, 20, s[0:1]
	ds_write_b32 v44, v0 offset:136
	s_waitcnt lgkmcnt(0)
	; wave barrier
	s_waitcnt lgkmcnt(0)
	global_load_dwordx4 v[0:3], v[17:18], off offset:136
	global_load_dword v40, v[17:18], off offset:152
	ds_read2_b32 v[19:20], v33 offset1:51
	ds_read2_b32 v[21:22], v33 offset0:102 offset1:153
	ds_read2_b32 v[23:24], v33 offset0:204 offset1:255
	;; [unrolled: 1-line block ×5, first 2 shown]
	s_waitcnt lgkmcnt(4)
	v_lshrrev_b32_e32 v47, 16, v21
	s_waitcnt lgkmcnt(3)
	v_lshrrev_b32_e32 v48, 16, v23
	s_waitcnt lgkmcnt(2)
	v_lshrrev_b32_e32 v49, 16, v25
	s_waitcnt lgkmcnt(1)
	v_lshrrev_b32_e32 v50, 16, v27
	s_waitcnt lgkmcnt(0)
	v_lshrrev_b32_e32 v51, 16, v45
	v_lshrrev_b32_e32 v53, 16, v22
	v_lshrrev_b32_e32 v54, 16, v24
	;; [unrolled: 1-line block ×7, first 2 shown]
	s_waitcnt lgkmcnt(0)
	; wave barrier
	s_waitcnt vmcnt(1)
	v_mul_f16_sdwa v58, v47, v0 dst_sel:DWORD dst_unused:UNUSED_PAD src0_sel:DWORD src1_sel:WORD_1
	v_fma_f16 v58, v21, v0, -v58
	v_mul_f16_sdwa v21, v21, v0 dst_sel:DWORD dst_unused:UNUSED_PAD src0_sel:DWORD src1_sel:WORD_1
	v_fma_f16 v21, v47, v0, v21
	v_mul_f16_sdwa v47, v48, v1 dst_sel:DWORD dst_unused:UNUSED_PAD src0_sel:DWORD src1_sel:WORD_1
	v_fma_f16 v47, v23, v1, -v47
	v_mul_f16_sdwa v23, v23, v1 dst_sel:DWORD dst_unused:UNUSED_PAD src0_sel:DWORD src1_sel:WORD_1
	v_fma_f16 v23, v48, v1, v23
	;; [unrolled: 4-line block ×4, first 2 shown]
	s_waitcnt vmcnt(0)
	v_mul_f16_sdwa v50, v51, v40 dst_sel:DWORD dst_unused:UNUSED_PAD src0_sel:DWORD src1_sel:WORD_1
	v_fma_f16 v50, v45, v40, -v50
	v_mul_f16_sdwa v45, v45, v40 dst_sel:DWORD dst_unused:UNUSED_PAD src0_sel:DWORD src1_sel:WORD_1
	v_fma_f16 v45, v51, v40, v45
	v_mul_f16_sdwa v51, v53, v0 dst_sel:DWORD dst_unused:UNUSED_PAD src0_sel:DWORD src1_sel:WORD_1
	v_fma_f16 v51, v22, v0, -v51
	v_mul_f16_sdwa v22, v22, v0 dst_sel:DWORD dst_unused:UNUSED_PAD src0_sel:DWORD src1_sel:WORD_1
	v_fma_f16 v22, v53, v0, v22
	;; [unrolled: 4-line block ×5, first 2 shown]
	v_mul_f16_sdwa v56, v57, v40 dst_sel:DWORD dst_unused:UNUSED_PAD src0_sel:DWORD src1_sel:WORD_1
	v_fma_f16 v56, v46, v40, -v56
	v_mul_f16_sdwa v46, v46, v40 dst_sel:DWORD dst_unused:UNUSED_PAD src0_sel:DWORD src1_sel:WORD_1
	v_add_f16_e32 v59, v47, v49
	v_fma_f16 v46, v57, v40, v46
	v_add_f16_e32 v57, v19, v47
	v_fma_f16 v19, v59, -0.5, v19
	v_sub_f16_e32 v59, v23, v27
	v_fma_f16 v60, v59, s3, v19
	v_fma_f16 v19, v59, s2, v19
	v_add_f16_e32 v59, v31, v23
	v_add_f16_e32 v59, v59, v27
	;; [unrolled: 1-line block ×3, first 2 shown]
	v_sub_f16_e32 v27, v47, v49
	v_add_f16_e32 v47, v48, v50
	v_add_f16_e32 v57, v57, v49
	v_fma_f16 v23, v23, -0.5, v31
	v_fma_f16 v47, v47, -0.5, v58
	v_sub_f16_e32 v49, v25, v45
	v_fma_f16 v31, v27, s2, v23
	v_fma_f16 v23, v27, s3, v23
	v_add_f16_e32 v27, v58, v48
	v_fma_f16 v58, v49, s3, v47
	v_fma_f16 v47, v49, s2, v47
	v_add_f16_e32 v49, v21, v25
	v_add_f16_e32 v25, v25, v45
	v_fma_f16 v21, v25, -0.5, v21
	v_sub_f16_e32 v25, v48, v50
	v_add_f16_e32 v49, v49, v45
	v_fma_f16 v45, v25, s2, v21
	v_mul_f16_e32 v48, 0x3aee, v45
	v_fma_f16 v21, v25, s3, v21
	v_fma_f16 v48, v58, 0.5, v48
	v_mul_f16_e32 v61, -0.5, v47
	v_mul_f16_e32 v58, 0xbaee, v58
	v_fma_f16 v61, v21, s3, v61
	v_fma_f16 v45, v45, 0.5, v58
	v_mul_f16_e32 v21, -0.5, v21
	v_add_f16_e32 v58, v31, v45
	v_fma_f16 v21, v47, s2, v21
	v_sub_f16_e32 v31, v31, v45
	v_add_f16_e32 v45, v53, v55
	v_add_f16_e32 v27, v27, v50
	;; [unrolled: 1-line block ×3, first 2 shown]
	v_sub_f16_e32 v21, v23, v21
	v_add_f16_e32 v23, v20, v53
	v_fma_f16 v20, v45, -0.5, v20
	v_sub_f16_e32 v45, v24, v28
	v_add_f16_e32 v25, v57, v27
	v_sub_f16_e32 v27, v57, v27
	v_fma_f16 v57, v45, s3, v20
	v_fma_f16 v20, v45, s2, v20
	v_add_f16_e32 v45, v52, v24
	v_add_f16_e32 v24, v24, v28
	;; [unrolled: 1-line block ×3, first 2 shown]
	v_fma_f16 v24, v24, -0.5, v52
	v_sub_f16_e32 v28, v53, v55
	v_add_f16_e32 v53, v54, v56
	v_fma_f16 v52, v28, s2, v24
	v_fma_f16 v24, v28, s3, v24
	v_add_f16_e32 v28, v51, v54
	v_fma_f16 v51, v53, -0.5, v51
	v_sub_f16_e32 v53, v26, v46
	v_add_f16_e32 v23, v23, v55
	v_fma_f16 v55, v53, s3, v51
	v_fma_f16 v51, v53, s2, v51
	v_add_f16_e32 v53, v22, v26
	v_add_f16_e32 v26, v26, v46
	v_fma_f16 v22, v26, -0.5, v22
	v_sub_f16_e32 v26, v54, v56
	v_add_f16_e32 v65, v59, v49
	v_sub_f16_e32 v49, v59, v49
	v_add_f16_e32 v53, v53, v46
	v_fma_f16 v46, v26, s2, v22
	v_fma_f16 v22, v26, s3, v22
	v_mul_f16_e32 v59, -0.5, v51
	v_fma_f16 v59, v22, s3, v59
	v_mul_f16_e32 v22, -0.5, v22
	v_add_f16_e32 v50, v60, v48
	v_mul_f16_e32 v54, 0x3aee, v46
	v_fma_f16 v22, v51, s2, v22
	v_add_f16_e32 v62, v19, v61
	v_fma_f16 v54, v55, 0.5, v54
	v_mul_f16_e32 v55, 0xbaee, v55
	v_add_f16_e32 v51, v24, v22
	v_sub_f16_e32 v22, v24, v22
	v_pack_b32_f16 v24, v25, v65
	v_pack_b32_f16 v25, v50, v58
	v_sub_f16_e32 v48, v60, v48
	v_sub_f16_e32 v19, v19, v61
	v_add_f16_e32 v28, v28, v56
	v_fma_f16 v46, v46, 0.5, v55
	ds_write2_b32 v33, v24, v25 offset1:51
	v_pack_b32_f16 v24, v62, v47
	v_pack_b32_f16 v25, v27, v49
	v_add_f16_e32 v26, v23, v28
	v_add_f16_e32 v56, v57, v54
	;; [unrolled: 1-line block ×4, first 2 shown]
	ds_write2_b32 v33, v24, v25 offset0:102 offset1:153
	v_pack_b32_f16 v24, v48, v31
	v_pack_b32_f16 v19, v19, v21
	v_add_f16_e32 v60, v20, v59
	v_sub_f16_e32 v23, v23, v28
	v_sub_f16_e32 v45, v45, v53
	ds_write2_b32 v33, v24, v19 offset0:204 offset1:255
	v_pack_b32_f16 v19, v26, v61
	v_pack_b32_f16 v21, v56, v55
	v_sub_f16_e32 v28, v57, v54
	v_sub_f16_e32 v20, v20, v59
	;; [unrolled: 1-line block ×3, first 2 shown]
	ds_write2_b32 v63, v19, v21 offset0:50 offset1:101
	v_pack_b32_f16 v19, v60, v51
	v_pack_b32_f16 v21, v23, v45
	ds_write2_b32 v63, v19, v21 offset0:152 offset1:203
	v_pack_b32_f16 v19, v28, v46
	v_pack_b32_f16 v20, v20, v22
	ds_write2_b32 v64, v19, v20 offset0:126 offset1:177
	v_lshlrev_b32_e32 v19, 4, v29
	v_sub_co_u32_e64 v17, s[0:1], v17, v19
	v_subbrev_co_u32_e64 v18, s[0:1], 0, v18, s[0:1]
	s_waitcnt lgkmcnt(0)
	; wave barrier
	s_waitcnt lgkmcnt(0)
	global_load_dword v45, v[17:18], off offset:1156
	global_load_dword v46, v[17:18], off offset:1360
	;; [unrolled: 1-line block ×6, first 2 shown]
	ds_read2_b32 v[20:21], v33 offset1:51
	ds_read2_b32 v[17:18], v63 offset0:50 offset1:101
	ds_read2_b32 v[22:23], v63 offset0:152 offset1:203
	ds_read2_b32 v[24:25], v33 offset0:102 offset1:153
	ds_read2_b32 v[60:61], v33 offset0:204 offset1:255
	ds_read2_b32 v[26:27], v64 offset0:126 offset1:177
	s_waitcnt lgkmcnt(5)
	v_lshrrev_b32_e32 v19, 16, v20
	s_waitcnt lgkmcnt(4)
	v_lshrrev_b32_e32 v28, 16, v17
	v_lshrrev_b32_e32 v51, 16, v18
	s_waitcnt lgkmcnt(3)
	v_lshrrev_b32_e32 v52, 16, v22
	;; [unrolled: 3-line block ×3, first 2 shown]
	v_lshrrev_b32_e32 v56, 16, v27
	v_lshrrev_b32_e32 v31, 16, v21
	;; [unrolled: 1-line block ×6, first 2 shown]
	s_waitcnt vmcnt(5)
	v_mul_f16_sdwa v57, v28, v45 dst_sel:DWORD dst_unused:UNUSED_PAD src0_sel:DWORD src1_sel:WORD_1
	v_fma_f16 v57, v17, v45, -v57
	v_mul_f16_sdwa v17, v17, v45 dst_sel:DWORD dst_unused:UNUSED_PAD src0_sel:DWORD src1_sel:WORD_1
	v_fma_f16 v17, v28, v45, v17
	s_waitcnt vmcnt(4)
	v_mul_f16_sdwa v28, v51, v46 dst_sel:DWORD dst_unused:UNUSED_PAD src0_sel:DWORD src1_sel:WORD_1
	v_fma_f16 v28, v18, v46, -v28
	v_mul_f16_sdwa v18, v18, v46 dst_sel:DWORD dst_unused:UNUSED_PAD src0_sel:DWORD src1_sel:WORD_1
	v_fma_f16 v59, v51, v46, v18
	;; [unrolled: 5-line block ×6, first 2 shown]
	v_sub_f16_e32 v18, v20, v57
	v_sub_f16_e32 v52, v19, v17
	v_fma_f16 v17, v20, 2.0, -v18
	v_sub_f16_e32 v20, v21, v28
	v_sub_f16_e32 v53, v31, v59
	;; [unrolled: 1-line block ×3, first 2 shown]
	v_fma_f16 v51, v19, 2.0, -v52
	v_fma_f16 v19, v21, 2.0, -v20
	;; [unrolled: 1-line block ×4, first 2 shown]
	v_sub_f16_e32 v24, v25, v68
	v_sub_f16_e32 v26, v60, v69
	;; [unrolled: 1-line block ×5, first 2 shown]
	v_fma_f16 v23, v25, 2.0, -v24
	v_fma_f16 v25, v60, 2.0, -v26
	;; [unrolled: 1-line block ×3, first 2 shown]
	v_sub_f16_e32 v28, v61, v71
	v_sub_f16_e32 v62, v65, v27
	v_pack_b32_f16 v31, v17, v51
	v_pack_b32_f16 v66, v19, v54
	v_fma_f16 v55, v55, 2.0, -v56
	v_fma_f16 v58, v58, 2.0, -v57
	;; [unrolled: 1-line block ×4, first 2 shown]
	v_pack_b32_f16 v65, v18, v52
	ds_write2_b32 v33, v31, v66 offset1:51
	v_pack_b32_f16 v31, v20, v53
	ds_write2_b32 v63, v65, v31 offset0:50 offset1:101
	v_pack_b32_f16 v31, v21, v55
	v_pack_b32_f16 v66, v23, v58
	;; [unrolled: 1-line block ×3, first 2 shown]
	ds_write2_b32 v33, v31, v66 offset0:102 offset1:153
	v_pack_b32_f16 v31, v24, v57
	ds_write2_b32 v63, v65, v31 offset0:152 offset1:203
	v_pack_b32_f16 v31, v25, v60
	v_pack_b32_f16 v65, v27, v61
	v_pack_b32_f16 v63, v26, v59
	ds_write2_b32 v33, v31, v65 offset0:204 offset1:255
	v_pack_b32_f16 v31, v28, v62
	ds_write2_b32 v64, v63, v31 offset0:126 offset1:177
	v_lshlrev_b32_e32 v31, 2, v29
	s_waitcnt lgkmcnt(0)
	; wave barrier
	s_waitcnt lgkmcnt(0)
	s_and_saveexec_b64 s[0:1], vcc
	s_cbranch_execz .LBB0_9
; %bb.8:
	global_load_dword v63, v30, s[6:7] offset:2448
	s_add_u32 s2, s6, 0x990
	s_addc_u32 s3, s7, 0
	global_load_dword v73, v30, s[2:3] offset:144
	global_load_dword v74, v30, s[2:3] offset:288
	;; [unrolled: 1-line block ×10, first 2 shown]
	ds_read_b32 v64, v33
	global_load_dword v85, v30, s[2:3] offset:1584
	global_load_dword v86, v30, s[2:3] offset:1728
	global_load_dword v87, v30, s[2:3] offset:1872
	global_load_dword v88, v30, s[2:3] offset:2016
	global_load_dword v89, v30, s[2:3] offset:2160
	global_load_dword v90, v30, s[2:3] offset:2304
	v_add_u32_e32 v83, 0x200, v31
	v_add_u32_e32 v84, 0x400, v31
	s_waitcnt lgkmcnt(0)
	v_lshrrev_b32_e32 v65, 16, v64
	s_waitcnt vmcnt(16)
	v_mul_f16_sdwa v66, v65, v63 dst_sel:DWORD dst_unused:UNUSED_PAD src0_sel:DWORD src1_sel:WORD_1
	v_mul_f16_sdwa v67, v64, v63 dst_sel:DWORD dst_unused:UNUSED_PAD src0_sel:DWORD src1_sel:WORD_1
	v_fma_f16 v64, v64, v63, -v66
	v_fma_f16 v63, v65, v63, v67
	v_pack_b32_f16 v63, v64, v63
	ds_write_b32 v33, v63
	ds_read2_b32 v[63:64], v31 offset0:36 offset1:72
	ds_read2_b32 v[65:66], v31 offset0:108 offset1:144
	;; [unrolled: 1-line block ×5, first 2 shown]
	s_waitcnt lgkmcnt(4)
	v_lshrrev_b32_e32 v91, 16, v63
	s_waitcnt vmcnt(15)
	v_mul_f16_sdwa v92, v63, v73 dst_sel:DWORD dst_unused:UNUSED_PAD src0_sel:DWORD src1_sel:WORD_1
	v_lshrrev_b32_e32 v93, 16, v64
	s_waitcnt vmcnt(14)
	v_mul_f16_sdwa v94, v64, v74 dst_sel:DWORD dst_unused:UNUSED_PAD src0_sel:DWORD src1_sel:WORD_1
	s_waitcnt lgkmcnt(3)
	v_lshrrev_b32_e32 v95, 16, v65
	s_waitcnt vmcnt(13)
	v_mul_f16_sdwa v96, v65, v75 dst_sel:DWORD dst_unused:UNUSED_PAD src0_sel:DWORD src1_sel:WORD_1
	v_lshrrev_b32_e32 v97, 16, v66
	s_waitcnt vmcnt(12)
	v_mul_f16_sdwa v98, v66, v76 dst_sel:DWORD dst_unused:UNUSED_PAD src0_sel:DWORD src1_sel:WORD_1
	;; [unrolled: 7-line block ×3, first 2 shown]
	s_waitcnt lgkmcnt(1)
	v_lshrrev_b32_e32 v103, 16, v69
	s_waitcnt vmcnt(9)
	v_mul_f16_sdwa v104, v69, v79 dst_sel:DWORD dst_unused:UNUSED_PAD src0_sel:DWORD src1_sel:WORD_1
	v_lshrrev_b32_e32 v105, 16, v70
	v_mul_f16_sdwa v110, v91, v73 dst_sel:DWORD dst_unused:UNUSED_PAD src0_sel:DWORD src1_sel:WORD_1
	v_fma_f16 v91, v91, v73, v92
	v_mul_f16_sdwa v92, v93, v74 dst_sel:DWORD dst_unused:UNUSED_PAD src0_sel:DWORD src1_sel:WORD_1
	s_waitcnt vmcnt(8)
	v_mul_f16_sdwa v106, v70, v80 dst_sel:DWORD dst_unused:UNUSED_PAD src0_sel:DWORD src1_sel:WORD_1
	v_fma_f16 v93, v93, v74, v94
	v_mul_f16_sdwa v94, v95, v75 dst_sel:DWORD dst_unused:UNUSED_PAD src0_sel:DWORD src1_sel:WORD_1
	v_fma_f16 v95, v95, v75, v96
	;; [unrolled: 2-line block ×6, first 2 shown]
	v_mul_f16_sdwa v104, v105, v80 dst_sel:DWORD dst_unused:UNUSED_PAD src0_sel:DWORD src1_sel:WORD_1
	v_fma_f16 v63, v63, v73, -v110
	v_fma_f16 v64, v64, v74, -v92
	v_fma_f16 v105, v105, v80, v106
	v_fma_f16 v65, v65, v75, -v94
	v_fma_f16 v66, v66, v76, -v96
	;; [unrolled: 1-line block ×6, first 2 shown]
	v_pack_b32_f16 v63, v63, v91
	v_pack_b32_f16 v64, v64, v93
	;; [unrolled: 1-line block ×8, first 2 shown]
	ds_write2_b32 v31, v63, v64 offset0:36 offset1:72
	ds_write2_b32 v31, v65, v66 offset0:108 offset1:144
	;; [unrolled: 1-line block ×4, first 2 shown]
	ds_read2_b32 v[63:64], v84 offset0:140 offset1:176
	s_waitcnt lgkmcnt(5)
	v_lshrrev_b32_e32 v107, 16, v71
	s_waitcnt vmcnt(7)
	v_mul_f16_sdwa v108, v71, v81 dst_sel:DWORD dst_unused:UNUSED_PAD src0_sel:DWORD src1_sel:WORD_1
	v_lshrrev_b32_e32 v109, 16, v72
	v_mul_f16_sdwa v106, v107, v81 dst_sel:DWORD dst_unused:UNUSED_PAD src0_sel:DWORD src1_sel:WORD_1
	v_fma_f16 v107, v107, v81, v108
	s_waitcnt vmcnt(6)
	v_mul_f16_sdwa v108, v109, v82 dst_sel:DWORD dst_unused:UNUSED_PAD src0_sel:DWORD src1_sel:WORD_1
	v_mul_f16_sdwa v66, v72, v82 dst_sel:DWORD dst_unused:UNUSED_PAD src0_sel:DWORD src1_sel:WORD_1
	v_fma_f16 v71, v71, v81, -v106
	v_fma_f16 v65, v72, v82, -v108
	v_fma_f16 v66, v109, v82, v66
	v_pack_b32_f16 v71, v71, v107
	v_pack_b32_f16 v65, v65, v66
	ds_write2_b32 v84, v71, v65 offset0:68 offset1:104
	s_waitcnt lgkmcnt(1)
	v_lshrrev_b32_e32 v65, 16, v63
	s_waitcnt vmcnt(5)
	v_mul_f16_sdwa v66, v65, v85 dst_sel:DWORD dst_unused:UNUSED_PAD src0_sel:DWORD src1_sel:WORD_1
	v_fma_f16 v66, v63, v85, -v66
	v_mul_f16_sdwa v63, v63, v85 dst_sel:DWORD dst_unused:UNUSED_PAD src0_sel:DWORD src1_sel:WORD_1
	v_lshrrev_b32_e32 v67, 16, v64
	v_fma_f16 v63, v65, v85, v63
	s_waitcnt vmcnt(4)
	v_mul_f16_sdwa v65, v67, v86 dst_sel:DWORD dst_unused:UNUSED_PAD src0_sel:DWORD src1_sel:WORD_1
	v_pack_b32_f16 v63, v66, v63
	v_fma_f16 v68, v64, v86, -v65
	ds_read2_b32 v[65:66], v84 offset0:212 offset1:248
	v_mul_f16_sdwa v64, v64, v86 dst_sel:DWORD dst_unused:UNUSED_PAD src0_sel:DWORD src1_sel:WORD_1
	v_fma_f16 v64, v67, v86, v64
	v_pack_b32_f16 v64, v68, v64
	ds_write2_b32 v84, v63, v64 offset0:140 offset1:176
	s_waitcnt lgkmcnt(1)
	v_lshrrev_b32_e32 v63, 16, v65
	s_waitcnt vmcnt(3)
	v_mul_f16_sdwa v64, v63, v87 dst_sel:DWORD dst_unused:UNUSED_PAD src0_sel:DWORD src1_sel:WORD_1
	v_fma_f16 v64, v65, v87, -v64
	v_mul_f16_sdwa v65, v65, v87 dst_sel:DWORD dst_unused:UNUSED_PAD src0_sel:DWORD src1_sel:WORD_1
	v_fma_f16 v63, v63, v87, v65
	v_lshrrev_b32_e32 v67, 16, v66
	v_pack_b32_f16 v65, v64, v63
	s_waitcnt vmcnt(2)
	v_mul_f16_sdwa v63, v67, v88 dst_sel:DWORD dst_unused:UNUSED_PAD src0_sel:DWORD src1_sel:WORD_1
	v_add_u32_e32 v69, 0x800, v31
	v_fma_f16 v68, v66, v88, -v63
	ds_read2_b32 v[63:64], v69 offset0:28 offset1:64
	v_mul_f16_sdwa v66, v66, v88 dst_sel:DWORD dst_unused:UNUSED_PAD src0_sel:DWORD src1_sel:WORD_1
	v_fma_f16 v66, v67, v88, v66
	v_pack_b32_f16 v66, v68, v66
	ds_write2_b32 v84, v65, v66 offset0:212 offset1:248
	s_waitcnt lgkmcnt(1)
	v_lshrrev_b32_e32 v65, 16, v63
	s_waitcnt vmcnt(1)
	v_mul_f16_sdwa v66, v65, v89 dst_sel:DWORD dst_unused:UNUSED_PAD src0_sel:DWORD src1_sel:WORD_1
	v_fma_f16 v66, v63, v89, -v66
	v_mul_f16_sdwa v63, v63, v89 dst_sel:DWORD dst_unused:UNUSED_PAD src0_sel:DWORD src1_sel:WORD_1
	v_fma_f16 v63, v65, v89, v63
	v_lshrrev_b32_e32 v65, 16, v64
	v_pack_b32_f16 v63, v66, v63
	s_waitcnt vmcnt(0)
	v_mul_f16_sdwa v66, v65, v90 dst_sel:DWORD dst_unused:UNUSED_PAD src0_sel:DWORD src1_sel:WORD_1
	v_fma_f16 v66, v64, v90, -v66
	v_mul_f16_sdwa v64, v64, v90 dst_sel:DWORD dst_unused:UNUSED_PAD src0_sel:DWORD src1_sel:WORD_1
	v_fma_f16 v64, v65, v90, v64
	v_pack_b32_f16 v64, v66, v64
	ds_write2_b32 v69, v63, v64 offset0:28 offset1:64
.LBB0_9:
	s_or_b64 exec, exec, s[0:1]
	s_waitcnt lgkmcnt(0)
	; wave barrier
	s_waitcnt lgkmcnt(0)
	s_and_saveexec_b64 s[0:1], vcc
	s_cbranch_execz .LBB0_11
; %bb.10:
	v_add_u32_e32 v5, 0x400, v33
	v_add_u32_e32 v7, 0x600, v33
	ds_read2_b32 v[17:18], v33 offset1:36
	ds_read2_b32 v[19:20], v33 offset0:72 offset1:108
	ds_read2_b32 v[21:22], v33 offset0:144 offset1:180
	;; [unrolled: 1-line block ×7, first 2 shown]
	ds_read_b32 v34, v33 offset:2304
	s_waitcnt lgkmcnt(8)
	v_lshrrev_b32_e32 v51, 16, v17
	v_lshrrev_b32_e32 v52, 16, v18
	s_waitcnt lgkmcnt(7)
	v_lshrrev_b32_e32 v54, 16, v19
	v_lshrrev_b32_e32 v53, 16, v20
	;; [unrolled: 3-line block ×8, first 2 shown]
	s_waitcnt lgkmcnt(0)
	v_lshrrev_b32_e32 v39, 16, v34
.LBB0_11:
	s_or_b64 exec, exec, s[0:1]
	s_waitcnt lgkmcnt(0)
	; wave barrier
	s_and_saveexec_b64 s[0:1], vcc
	s_cbranch_execz .LBB0_13
; %bb.12:
	v_sub_f16_e32 v63, v18, v34
	v_mul_f16_e32 v87, 0xba62, v63
	v_add_f16_e32 v88, v39, v52
	s_mov_b32 s2, 0xb8d2
	v_fma_f16 v64, v88, s2, v87
	v_add_f16_e32 v65, v51, v64
	v_sub_f16_e32 v64, v19, v8
	v_mul_f16_e32 v89, 0x3bb2, v64
	v_add_f16_e32 v90, v35, v54
	s_mov_b32 s3, 0xb461
	v_fma_f16 v66, v90, s3, v89
	v_add_f16_e32 v65, v66, v65
	v_sub_f16_e32 v66, v20, v7
	v_mul_f16_e32 v91, 0xb5c8, v66
	v_add_f16_e32 v92, v36, v53
	s_movk_i32 s14, 0x3b76
	v_fma_f16 v67, v92, s14, v91
	v_add_f16_e32 v65, v67, v65
	v_sub_f16_e32 v67, v21, v6
	v_mul_f16_e32 v93, 0xb836, v67
	v_add_f16_e32 v94, v37, v55
	s_mov_b32 s5, 0xbacd
	v_fma_f16 v68, v94, s5, v93
	v_add_f16_e32 v65, v68, v65
	v_sub_f16_e32 v68, v22, v5
	v_mul_f16_e32 v95, 0x3bf7, v68
	v_add_f16_e32 v96, v38, v56
	s_movk_i32 s16, 0x2de8
	v_fma_f16 v69, v96, s16, v95
	v_add_f16_e32 v65, v69, v65
	v_sub_f16_e32 v69, v23, v28
	v_mul_f16_e32 v97, 0xb964, v69
	v_add_f16_e32 v98, v62, v58
	s_movk_i32 s19, 0x39e9
	v_fma_f16 v70, v98, s19, v97
	v_add_f16_e32 v65, v70, v65
	v_sub_f16_e32 v70, v24, v27
	v_mul_f16_e32 v99, 0xb1e1, v70
	v_add_f16_e32 v100, v61, v57
	s_mov_b32 s18, 0xbbdd
	v_fma_f16 v71, v100, s18, v99
	v_add_f16_e32 v65, v71, v65
	v_sub_f16_e32 v71, v25, v26
	v_mul_f16_e32 v101, 0x3b29, v71
	v_add_f16_e32 v102, v59, v60
	s_movk_i32 s22, 0x3722
	v_fma_f16 v72, v102, s22, v101
	v_sub_f16_e32 v103, v52, v39
	v_add_f16_e32 v65, v72, v65
	v_add_f16_e32 v72, v34, v18
	v_mul_f16_e32 v104, 0xba62, v103
	v_fma_f16 v87, v88, s2, -v87
	v_fma_f16 v73, v72, s2, -v104
	v_sub_f16_e32 v105, v54, v35
	v_add_f16_e32 v87, v51, v87
	v_fma_f16 v89, v90, s3, -v89
	v_add_f16_e32 v74, v17, v73
	v_add_f16_e32 v73, v8, v19
	v_mul_f16_e32 v106, 0x3bb2, v105
	v_add_f16_e32 v87, v89, v87
	v_fma_f16 v89, v92, s14, -v91
	v_fma_f16 v75, v73, s3, -v106
	v_sub_f16_e32 v107, v53, v36
	v_add_f16_e32 v87, v89, v87
	v_fma_f16 v89, v94, s5, -v93
	v_add_f16_e32 v75, v75, v74
	v_add_f16_e32 v74, v7, v20
	v_mul_f16_e32 v108, 0xb5c8, v107
	v_add_f16_e32 v87, v89, v87
	;; [unrolled: 9-line block ×4, first 2 shown]
	v_fma_f16 v89, v72, s2, v104
	v_fma_f16 v78, v77, s16, -v112
	v_sub_f16_e32 v113, v58, v62
	v_add_f16_e32 v89, v17, v89
	v_fma_f16 v91, v73, s3, v106
	v_add_f16_e32 v75, v78, v75
	v_add_f16_e32 v78, v28, v23
	v_mul_f16_e32 v114, 0xb964, v113
	v_add_f16_e32 v89, v91, v89
	v_fma_f16 v91, v74, s14, v108
	v_fma_f16 v79, v78, s19, -v114
	v_sub_f16_e32 v115, v57, v61
	v_add_f16_e32 v89, v91, v89
	v_fma_f16 v91, v76, s5, v110
	v_add_f16_e32 v75, v79, v75
	v_add_f16_e32 v79, v27, v24
	v_mul_f16_e32 v116, 0xb1e1, v115
	v_add_f16_e32 v89, v91, v89
	;; [unrolled: 9-line block ×3, first 2 shown]
	v_fma_f16 v91, v79, s18, v116
	v_add_f16_e32 v89, v91, v89
	v_fma_f16 v91, v80, s22, v118
	s_movk_i32 s21, 0x3bb2
	v_add_f16_e32 v89, v91, v89
	v_mul_f16_e32 v91, 0xb461, v88
	s_mov_b32 s15, 0xb836
	v_fma_f16 v93, v63, s21, v91
	v_mul_f16_e32 v95, 0xbacd, v90
	v_add_f16_e32 v93, v51, v93
	v_fma_f16 v97, v64, s15, v95
	s_mov_b32 s23, 0xb964
	v_add_f16_e32 v93, v97, v93
	v_mul_f16_e32 v97, 0x39e9, v92
	v_fma_f16 v81, v80, s22, -v118
	v_mul_f16_e32 v119, 0xb836, v63
	v_fma_f16 v99, v66, s23, v97
	s_movk_i32 s24, 0x3b29
	v_add_f16_e32 v75, v81, v75
	v_fma_f16 v81, v88, s5, v119
	v_mul_f16_e32 v120, 0x3b29, v64
	v_fma_f16 v119, v88, s5, -v119
	v_add_f16_e32 v93, v99, v93
	v_mul_f16_e32 v99, 0x3722, v94
	v_fma_f16 v82, v90, s22, v120
	v_mul_f16_e32 v121, 0xbbf7, v66
	v_add_f16_e32 v119, v51, v119
	v_fma_f16 v120, v90, s22, -v120
	v_fma_f16 v101, v67, s24, v99
	v_mul_f16_e32 v122, 0x3a62, v67
	v_add_f16_e32 v119, v120, v119
	v_fma_f16 v120, v92, s16, -v121
	v_add_f16_e32 v93, v101, v93
	v_mul_f16_e32 v101, 0xbbdd, v96
	v_mul_f16_e32 v123, 0xb5c8, v68
	v_add_f16_e32 v119, v120, v119
	v_fma_f16 v120, v94, s2, -v122
	v_fma_f16 v104, v68, s34, v101
	v_add_f16_e32 v81, v51, v81
	s_mov_b32 s25, 0xbbf7
	v_mul_f16_e32 v124, 0xb1e1, v69
	v_add_f16_e32 v119, v120, v119
	v_fma_f16 v120, v96, s14, -v123
	v_add_f16_e32 v93, v104, v93
	v_mul_f16_e32 v104, 0x2de8, v98
	v_add_f16_e32 v81, v82, v81
	v_fma_f16 v82, v92, s16, v121
	v_mul_f16_e32 v125, 0x3964, v70
	v_add_f16_e32 v119, v120, v119
	v_fma_f16 v120, v98, s18, -v124
	v_fma_f16 v106, v69, s25, v104
	v_add_f16_e32 v81, v82, v81
	v_fma_f16 v82, v94, s2, v122
	v_mul_f16_e32 v126, 0xbbb2, v71
	s_movk_i32 s28, 0x35c8
	v_add_f16_e32 v119, v120, v119
	v_fma_f16 v120, v100, s19, -v125
	v_add_f16_e32 v93, v106, v93
	v_mul_f16_e32 v106, 0x3b76, v100
	v_add_f16_e32 v81, v82, v81
	v_fma_f16 v82, v96, s14, v123
	v_mul_f16_e32 v127, 0xb836, v103
	v_add_f16_e32 v119, v120, v119
	v_fma_f16 v120, v102, s3, -v126
	v_fma_f16 v108, v70, s28, v106
	s_movk_i32 s30, 0x3a62
	v_add_f16_e32 v81, v82, v81
	v_fma_f16 v82, v98, s18, v124
	v_mul_f16_e32 v128, 0x3b29, v105
	v_add_f16_e32 v119, v120, v119
	v_fma_f16 v120, v72, s5, v127
	v_add_f16_e32 v93, v108, v93
	v_mul_f16_e32 v108, 0xb8d2, v102
	v_add_f16_e32 v81, v82, v81
	v_fma_f16 v82, v100, s19, v125
	v_mul_f16_e32 v129, 0xbbf7, v107
	v_add_f16_e32 v120, v17, v120
	v_fma_f16 v121, v73, s22, v128
	v_fma_f16 v110, v71, s30, v108
	v_add_f16_e32 v81, v82, v81
	v_fma_f16 v82, v102, s3, v126
	v_mul_f16_e32 v130, 0x3a62, v109
	v_add_f16_e32 v120, v121, v120
	v_fma_f16 v121, v74, s16, v129
	v_add_f16_e32 v93, v110, v93
	v_mul_f16_e32 v110, 0xbbb2, v103
	v_add_f16_e32 v81, v82, v81
	v_fma_f16 v82, v72, s5, -v127
	v_mul_f16_e32 v131, 0xb5c8, v111
	v_add_f16_e32 v120, v121, v120
	v_fma_f16 v121, v76, s2, v130
	v_fma_f16 v112, v72, s3, v110
	v_mul_f16_e32 v114, 0x3836, v105
	v_add_f16_e32 v82, v17, v82
	v_fma_f16 v83, v73, s22, -v128
	v_mul_f16_e32 v132, 0xb1e1, v113
	v_add_f16_e32 v120, v121, v120
	v_fma_f16 v121, v77, s14, v131
	v_add_f16_e32 v112, v17, v112
	v_fma_f16 v116, v73, s5, v114
	v_add_f16_e32 v82, v83, v82
	v_fma_f16 v83, v74, s16, -v129
	v_mul_f16_e32 v133, 0x3964, v115
	v_add_f16_e32 v120, v121, v120
	v_fma_f16 v121, v78, s18, v132
	v_add_f16_e32 v112, v116, v112
	v_mul_f16_e32 v116, 0x3964, v107
	v_add_f16_e32 v82, v83, v82
	v_fma_f16 v83, v76, s2, -v130
	v_mul_f16_e32 v134, 0xbbb2, v117
	v_add_f16_e32 v120, v121, v120
	v_fma_f16 v121, v79, s19, v133
	v_fma_f16 v118, v74, s19, v116
	v_add_f16_e32 v82, v83, v82
	v_fma_f16 v83, v77, s14, -v131
	v_add_f16_e32 v120, v121, v120
	v_fma_f16 v121, v80, s3, v134
	v_add_f16_e32 v112, v118, v112
	v_mul_f16_e32 v118, 0xbb29, v109
	v_add_f16_e32 v82, v83, v82
	v_fma_f16 v83, v78, s18, -v132
	v_add_f16_e32 v120, v121, v120
	v_fma_f16 v121, v76, s22, v118
	v_add_f16_e32 v82, v83, v82
	v_fma_f16 v83, v79, s19, -v133
	v_add_f16_e32 v112, v121, v112
	v_mul_f16_e32 v121, 0xb1e1, v111
	v_add_f16_e32 v82, v83, v82
	v_fma_f16 v83, v80, s3, -v134
	v_mul_f16_e32 v85, 0xb1e1, v63
	v_fma_f16 v122, v77, s18, v121
	v_add_f16_e32 v82, v83, v82
	v_fma_f16 v83, v88, s18, v85
	v_mul_f16_e32 v86, 0x35c8, v64
	v_add_f16_e32 v112, v122, v112
	v_mul_f16_e32 v122, 0x3bf7, v113
	v_add_f16_e32 v83, v51, v83
	v_fma_f16 v84, v90, s14, v86
	v_mul_f16_e32 v135, 0xb836, v66
	v_fma_f16 v123, v78, s16, v122
	v_add_f16_e32 v83, v84, v83
	v_fma_f16 v84, v92, s5, v135
	v_mul_f16_e32 v136, 0x3964, v67
	v_add_f16_e32 v112, v123, v112
	v_mul_f16_e32 v123, 0xb5c8, v115
	v_add_f16_e32 v83, v84, v83
	v_fma_f16 v84, v94, s19, v136
	;; [unrolled: 9-line block ×3, first 2 shown]
	v_mul_f16_e32 v139, 0xbbb2, v70
	v_fma_f16 v125, v80, s2, v124
	s_movk_i32 s27, 0x3bf7
	v_add_f16_e32 v83, v84, v83
	v_fma_f16 v84, v100, s3, v139
	v_mul_f16_e32 v140, 0x3bf7, v71
	v_fma_f16 v85, v88, s18, -v85
	v_add_f16_e32 v112, v125, v112
	v_mul_f16_e32 v125, 0x2de8, v88
	v_add_f16_e32 v83, v84, v83
	v_fma_f16 v84, v102, s16, v140
	v_mul_f16_e32 v141, 0xb1e1, v103
	v_add_f16_e32 v85, v51, v85
	v_fma_f16 v86, v90, s14, -v86
	v_fma_f16 v126, v63, s27, v125
	v_mul_f16_e32 v127, 0xbbdd, v90
	v_add_f16_e32 v83, v84, v83
	v_fma_f16 v84, v72, s18, -v141
	v_mul_f16_e32 v142, 0x35c8, v105
	v_add_f16_e32 v85, v86, v85
	v_fma_f16 v86, v92, s5, -v135
	v_add_f16_e32 v126, v51, v126
	v_fma_f16 v128, v64, s34, v127
	s_mov_b32 s26, 0xbbb2
	v_add_f16_e32 v84, v17, v84
	v_fma_f16 v143, v73, s14, -v142
	v_add_f16_e32 v85, v86, v85
	v_fma_f16 v86, v94, s19, -v136
	v_add_f16_e32 v126, v128, v126
	v_mul_f16_e32 v128, 0xb461, v92
	v_add_f16_e32 v84, v143, v84
	v_mul_f16_e32 v143, 0xb836, v107
	v_add_f16_e32 v85, v86, v85
	v_fma_f16 v86, v96, s2, -v137
	v_fma_f16 v129, v66, s26, v128
	s_mov_b32 s17, 0xb5c8
	v_fma_f16 v144, v74, s5, -v143
	v_add_f16_e32 v85, v86, v85
	v_fma_f16 v86, v98, s22, -v138
	v_add_f16_e32 v126, v129, v126
	v_mul_f16_e32 v129, 0x3b76, v94
	v_add_f16_e32 v84, v144, v84
	v_mul_f16_e32 v144, 0x3964, v109
	v_add_f16_e32 v85, v86, v85
	v_fma_f16 v86, v100, s3, -v139
	v_fma_f16 v130, v67, s17, v129
	v_fma_f16 v145, v76, s19, -v144
	v_add_f16_e32 v85, v86, v85
	v_fma_f16 v86, v102, s16, -v140
	v_add_f16_e32 v126, v130, v126
	v_mul_f16_e32 v130, 0x3722, v96
	v_add_f16_e32 v84, v145, v84
	v_mul_f16_e32 v145, 0xba62, v111
	v_add_f16_e32 v85, v86, v85
	v_fma_f16 v86, v72, s18, v141
	v_fma_f16 v131, v68, s24, v130
	v_fma_f16 v146, v77, s2, -v145
	v_add_f16_e32 v86, v17, v86
	v_fma_f16 v135, v73, s14, v142
	s_movk_i32 s33, 0x3836
	v_add_f16_e32 v126, v131, v126
	v_mul_f16_e32 v131, 0xbacd, v98
	v_add_f16_e32 v84, v146, v84
	v_mul_f16_e32 v146, 0x3b29, v113
	v_add_f16_e32 v86, v135, v86
	v_fma_f16 v135, v74, s5, v143
	v_fma_f16 v132, v69, s33, v131
	s_mov_b32 s4, 0xba62
	v_fma_f16 v147, v78, s22, -v146
	v_add_f16_e32 v86, v135, v86
	v_fma_f16 v135, v76, s19, v144
	v_add_f16_e32 v126, v132, v126
	v_mul_f16_e32 v132, 0xb8d2, v100
	v_add_f16_e32 v84, v147, v84
	v_mul_f16_e32 v147, 0xbbb2, v115
	v_add_f16_e32 v86, v135, v86
	v_fma_f16 v135, v77, s2, v145
	v_fma_f16 v133, v70, s4, v132
	v_fma_f16 v148, v79, s3, -v147
	v_add_f16_e32 v86, v135, v86
	v_fma_f16 v135, v78, s22, v146
	v_add_f16_e32 v126, v133, v126
	v_mul_f16_e32 v133, 0x39e9, v102
	v_add_f16_e32 v84, v148, v84
	v_mul_f16_e32 v148, 0x3bf7, v117
	v_add_f16_e32 v86, v135, v86
	v_fma_f16 v135, v79, s3, v147
	v_fma_f16 v134, v71, s23, v133
	v_add_f16_e32 v18, v18, v17
	v_add_f16_e32 v86, v135, v86
	v_fma_f16 v135, v80, s16, v148
	v_add_f16_e32 v126, v134, v126
	v_mul_f16_e32 v134, 0xbbf7, v103
	v_add_f16_e32 v18, v19, v18
	v_add_f16_e32 v86, v135, v86
	v_fma_f16 v135, v72, s16, v134
	v_mul_f16_e32 v136, 0xb1e1, v105
	v_add_f16_e32 v18, v20, v18
	v_add_f16_e32 v135, v17, v135
	v_fma_f16 v137, v73, s18, v136
	v_add_f16_e32 v18, v21, v18
	v_add_f16_e32 v135, v137, v135
	v_mul_f16_e32 v137, 0x3bb2, v107
	v_add_f16_e32 v18, v22, v18
	v_fma_f16 v138, v74, s3, v137
	v_add_f16_e32 v18, v23, v18
	v_add_f16_e32 v135, v138, v135
	v_mul_f16_e32 v138, 0x35c8, v109
	v_add_f16_e32 v18, v24, v18
	v_fma_f16 v139, v76, s14, v138
	v_add_f16_e32 v18, v25, v18
	v_add_f16_e32 v135, v139, v135
	v_mul_f16_e32 v139, 0xbb29, v111
	v_add_f16_e32 v18, v26, v18
	v_fma_f16 v140, v77, s22, v139
	v_add_f16_e32 v18, v27, v18
	v_add_f16_e32 v135, v140, v135
	v_mul_f16_e32 v140, 0xb836, v113
	v_add_f16_e32 v18, v28, v18
	v_fma_f16 v141, v78, s5, v140
	v_add_f16_e32 v5, v5, v18
	v_add_f16_e32 v135, v141, v135
	v_mul_f16_e32 v141, 0x3a62, v115
	v_add_f16_e32 v5, v6, v5
	v_fma_f16 v142, v79, s2, v141
	v_add_f16_e32 v5, v7, v5
	v_fma_f16 v7, v63, s26, v91
	s_movk_i32 s29, 0x3964
	v_add_f16_e32 v135, v142, v135
	v_mul_f16_e32 v142, 0x3964, v117
	v_add_f16_e32 v5, v8, v5
	v_add_f16_e32 v7, v51, v7
	v_fma_f16 v8, v64, s33, v95
	s_mov_b32 s31, 0xbb29
	v_fma_f16 v143, v80, s19, v142
	v_add_f16_e32 v7, v8, v7
	v_fma_f16 v8, v66, s29, v97
	s_mov_b32 s20, 0xb1e1
	v_add_f16_e32 v135, v143, v135
	v_mul_f16_e32 v143, 0x3722, v88
	v_add_f16_e32 v7, v8, v7
	v_fma_f16 v8, v67, s31, v99
	v_fma_f16 v144, v63, s24, v143
	v_mul_f16_e32 v145, 0xb8d2, v90
	v_add_f16_e32 v7, v8, v7
	v_fma_f16 v8, v68, s20, v101
	v_add_f16_e32 v144, v51, v144
	v_fma_f16 v146, v64, s30, v145
	;; [unrolled: 2-line block ×3, first 2 shown]
	v_add_f16_e32 v144, v146, v144
	v_mul_f16_e32 v146, 0xbbdd, v92
	v_add_f16_e32 v7, v8, v7
	v_fma_f16 v8, v70, s17, v106
	v_fma_f16 v147, v66, s20, v146
	v_add_f16_e32 v7, v8, v7
	v_fma_f16 v8, v71, s4, v108
	v_add_f16_e32 v144, v147, v144
	v_mul_f16_e32 v147, 0xb461, v94
	v_add_f16_e32 v7, v8, v7
	v_fma_f16 v8, v72, s3, -v110
	v_fma_f16 v149, v80, s16, -v148
	v_fma_f16 v148, v67, s26, v147
	v_add_f16_e32 v8, v17, v8
	v_fma_f16 v18, v73, s5, -v114
	v_add_f16_e32 v144, v148, v144
	v_mul_f16_e32 v148, 0x39e9, v96
	v_add_f16_e32 v8, v18, v8
	v_fma_f16 v18, v74, s19, -v116
	v_add_f16_e32 v84, v149, v84
	v_fma_f16 v149, v68, s23, v148
	v_add_f16_e32 v8, v18, v8
	v_fma_f16 v18, v76, s22, -v118
	v_add_f16_e32 v144, v149, v144
	v_mul_f16_e32 v149, 0x3b76, v98
	v_add_f16_e32 v8, v18, v8
	v_fma_f16 v18, v77, s18, -v121
	v_fma_f16 v150, v69, s28, v149
	v_add_f16_e32 v8, v18, v8
	v_fma_f16 v18, v78, s16, -v122
	v_add_f16_e32 v144, v150, v144
	v_mul_f16_e32 v150, 0x2de8, v100
	v_add_f16_e32 v8, v18, v8
	v_fma_f16 v18, v79, s14, -v123
	v_fma_f16 v151, v70, s27, v150
	v_add_f16_e32 v8, v18, v8
	v_fma_f16 v18, v80, s2, -v124
	v_add_f16_e32 v144, v151, v144
	v_mul_f16_e32 v151, 0xbacd, v102
	v_add_f16_e32 v8, v18, v8
	v_fma_f16 v18, v63, s25, v125
	v_fma_f16 v152, v71, s33, v151
	v_add_f16_e32 v18, v51, v18
	v_fma_f16 v19, v64, s20, v127
	v_add_f16_e32 v144, v152, v144
	v_mul_f16_e32 v152, 0xbb29, v103
	v_add_f16_e32 v18, v19, v18
	v_fma_f16 v19, v66, s21, v128
	v_fma_f16 v153, v72, s22, v152
	v_mul_f16_e32 v154, 0xba62, v105
	v_add_f16_e32 v18, v19, v18
	v_fma_f16 v19, v67, s28, v129
	v_add_f16_e32 v153, v17, v153
	v_fma_f16 v155, v73, s2, v154
	;; [unrolled: 2-line block ×3, first 2 shown]
	v_add_f16_e32 v153, v155, v153
	v_mul_f16_e32 v155, 0x31e1, v107
	v_add_f16_e32 v18, v19, v18
	v_fma_f16 v19, v69, s15, v131
	v_fma_f16 v156, v74, s18, v155
	v_add_f16_e32 v18, v19, v18
	v_fma_f16 v19, v70, s30, v132
	v_add_f16_e32 v153, v156, v153
	v_mul_f16_e32 v156, 0x3bb2, v109
	v_add_f16_e32 v18, v19, v18
	v_fma_f16 v19, v71, s29, v133
	v_fma_f16 v157, v76, s3, v156
	v_add_f16_e32 v18, v19, v18
	v_fma_f16 v19, v72, s16, -v134
	v_add_f16_e32 v153, v157, v153
	v_mul_f16_e32 v157, 0x3964, v111
	v_add_f16_e32 v19, v17, v19
	v_fma_f16 v20, v73, s18, -v136
	v_fma_f16 v158, v77, s19, v157
	v_add_f16_e32 v19, v20, v19
	v_fma_f16 v20, v74, s3, -v137
	v_add_f16_e32 v153, v158, v153
	v_mul_f16_e32 v158, 0xb5c8, v113
	v_add_f16_e32 v19, v20, v19
	v_fma_f16 v20, v76, s14, -v138
	;; [unrolled: 7-line block ×4, first 2 shown]
	v_fma_f16 v161, v80, s5, v160
	v_add_f16_e32 v19, v20, v19
	v_fma_f16 v20, v63, s31, v143
	v_add_f16_e32 v153, v161, v153
	v_mul_f16_e32 v161, 0x39e9, v88
	v_add_f16_e32 v20, v51, v20
	v_fma_f16 v21, v64, s4, v145
	v_fma_f16 v162, v63, s29, v161
	v_mul_f16_e32 v163, 0x2de8, v90
	v_add_f16_e32 v20, v21, v20
	v_fma_f16 v21, v66, s34, v146
	v_add_f16_e32 v162, v51, v162
	v_fma_f16 v164, v64, s27, v163
	;; [unrolled: 2-line block ×3, first 2 shown]
	v_add_f16_e32 v162, v164, v162
	v_mul_f16_e32 v164, 0xb8d2, v92
	v_add_f16_e32 v20, v21, v20
	v_fma_f16 v21, v68, s29, v148
	v_fma_f16 v165, v66, s30, v164
	v_add_f16_e32 v20, v21, v20
	v_fma_f16 v21, v69, s17, v149
	v_add_f16_e32 v162, v165, v162
	v_mul_f16_e32 v165, 0xbbdd, v94
	v_add_f16_e32 v20, v21, v20
	v_fma_f16 v21, v70, s25, v150
	v_fma_f16 v166, v67, s34, v165
	v_add_f16_e32 v20, v21, v20
	v_fma_f16 v21, v71, s15, v151
	v_add_f16_e32 v162, v166, v162
	v_mul_f16_e32 v166, 0xbacd, v96
	v_add_f16_e32 v20, v21, v20
	v_fma_f16 v21, v72, s22, -v152
	v_fma_f16 v167, v68, s15, v166
	v_add_f16_e32 v21, v17, v21
	v_fma_f16 v22, v73, s2, -v154
	v_add_f16_e32 v162, v167, v162
	v_mul_f16_e32 v167, 0xb461, v98
	v_add_f16_e32 v21, v22, v21
	v_fma_f16 v22, v74, s18, -v155
	v_fma_f16 v168, v69, s26, v167
	v_add_f16_e32 v21, v22, v21
	v_fma_f16 v22, v76, s3, -v156
	;; [unrolled: 7-line block ×4, first 2 shown]
	v_add_f16_e32 v162, v170, v162
	v_mul_f16_e32 v170, 0xb964, v103
	v_add_f16_e32 v21, v22, v21
	v_fma_f16 v22, v63, s23, v161
	v_fma_f16 v171, v72, s19, v170
	v_mul_f16_e32 v172, 0xbbf7, v105
	v_add_f16_e32 v22, v51, v22
	v_fma_f16 v23, v64, s25, v163
	v_add_f16_e32 v171, v17, v171
	v_fma_f16 v173, v73, s16, v172
	;; [unrolled: 2-line block ×3, first 2 shown]
	v_add_f16_e32 v171, v173, v171
	v_mul_f16_e32 v173, 0xba62, v107
	v_add_f16_e32 v22, v23, v22
	v_fma_f16 v23, v67, s20, v165
	v_fma_f16 v174, v74, s2, v173
	v_add_f16_e32 v22, v23, v22
	v_fma_f16 v23, v68, s33, v166
	v_add_f16_e32 v171, v174, v171
	v_mul_f16_e32 v174, 0xb1e1, v109
	v_add_f16_e32 v22, v23, v22
	v_fma_f16 v23, v69, s21, v167
	v_fma_f16 v175, v76, s18, v174
	v_add_f16_e32 v22, v23, v22
	v_fma_f16 v23, v70, s24, v168
	v_add_f16_e32 v171, v175, v171
	v_mul_f16_e32 v175, 0x3836, v111
	v_add_f16_e32 v22, v23, v22
	v_fma_f16 v23, v71, s28, v169
	v_fma_f16 v176, v77, s5, v175
	v_add_f16_e32 v22, v23, v22
	v_fma_f16 v23, v72, s19, -v170
	v_add_f16_e32 v171, v176, v171
	v_mul_f16_e32 v176, 0x3bb2, v113
	v_add_f16_e32 v23, v17, v23
	v_fma_f16 v24, v73, s16, -v172
	v_fma_f16 v177, v78, s3, v176
	v_add_f16_e32 v23, v24, v23
	v_fma_f16 v24, v74, s2, -v173
	v_add_f16_e32 v171, v177, v171
	v_mul_f16_e32 v177, 0x3b29, v115
	v_add_f16_e32 v23, v24, v23
	v_fma_f16 v24, v76, s18, -v174
	;; [unrolled: 7-line block ×3, first 2 shown]
	v_fma_f16 v179, v80, s14, v178
	v_mul_f16_e32 v88, 0x3b76, v88
	v_add_f16_e32 v23, v24, v23
	v_fma_f16 v24, v79, s22, -v177
	v_add_f16_e32 v171, v179, v171
	v_fma_f16 v179, v63, s28, v88
	v_mul_f16_e32 v90, 0x39e9, v90
	v_add_f16_e32 v23, v24, v23
	v_fma_f16 v24, v80, s14, -v178
	v_add_f16_e32 v179, v51, v179
	v_fma_f16 v180, v64, s29, v90
	v_mul_f16_e32 v92, 0x3722, v92
	v_add_f16_e32 v6, v52, v51
	v_add_f16_e32 v23, v24, v23
	v_fma_f16 v24, v63, s17, v88
	v_add_f16_e32 v179, v180, v179
	v_fma_f16 v180, v66, s24, v92
	v_mul_f16_e32 v94, 0x2de8, v94
	v_add_f16_e32 v6, v54, v6
	v_add_f16_e32 v24, v51, v24
	v_fma_f16 v25, v64, s23, v90
	;; [unrolled: 6-line block ×8, first 2 shown]
	v_add_f16_e32 v180, v17, v180
	v_fma_f16 v181, v73, s19, v105
	v_mul_f16_e32 v107, 0xbb29, v107
	v_add_f16_e32 v6, v59, v6
	v_add_f16_e32 v24, v25, v24
	v_fma_f16 v25, v72, s14, -v103
	v_add_f16_e32 v180, v181, v180
	v_fma_f16 v181, v74, s22, v107
	v_mul_f16_e32 v109, 0xbbf7, v109
	v_add_f16_e32 v6, v61, v6
	v_add_f16_e32 v17, v17, v25
	v_fma_f16 v25, v73, s19, -v105
	;; [unrolled: 6-line block ×6, first 2 shown]
	v_add_f16_e32 v180, v181, v180
	v_fma_f16 v181, v80, s18, v117
	v_add_f16_e32 v6, v35, v6
	v_add_f16_e32 v17, v25, v17
	v_fma_f16 v25, v79, s5, -v115
	v_add_f16_e32 v180, v181, v180
	v_add_f16_e32 v5, v34, v5
	v_add_f16_e32 v6, v39, v6
	v_add_f16_e32 v17, v25, v17
	v_fma_f16 v25, v80, s18, -v117
	v_add_f16_e32 v17, v25, v17
	v_lshlrev_b32_e32 v25, 2, v32
	v_pack_b32_f16 v26, v180, v179
	v_pack_b32_f16 v5, v5, v6
	ds_write2_b32 v25, v5, v26 offset1:1
	v_pack_b32_f16 v5, v153, v144
	v_pack_b32_f16 v6, v171, v162
	ds_write2_b32 v25, v6, v5 offset0:2 offset1:3
	v_pack_b32_f16 v5, v112, v93
	v_pack_b32_f16 v6, v135, v126
	ds_write2_b32 v25, v6, v5 offset0:4 offset1:5
	;; [unrolled: 3-line block ×7, first 2 shown]
	v_pack_b32_f16 v5, v17, v24
	ds_write_b32 v25, v5 offset:64
.LBB0_13:
	s_or_b64 exec, exec, s[0:1]
	s_waitcnt lgkmcnt(0)
	; wave barrier
	s_waitcnt lgkmcnt(0)
	ds_read2_b32 v[5:6], v33 offset1:51
	ds_read2_b32 v[7:8], v33 offset0:204 offset1:255
	v_add_u32_e32 v25, 0x400, v33
	ds_read2_b32 v[17:18], v25 offset0:152 offset1:203
	ds_read2_b32 v[19:20], v33 offset0:102 offset1:153
	;; [unrolled: 1-line block ×3, first 2 shown]
	v_add_u32_e32 v34, 0x600, v33
	s_waitcnt lgkmcnt(3)
	v_lshrrev_b32_e32 v27, 16, v7
	v_mul_f16_sdwa v54, v11, v27 dst_sel:DWORD dst_unused:UNUSED_PAD src0_sel:WORD_1 src1_sel:DWORD
	s_waitcnt lgkmcnt(2)
	v_lshrrev_b32_e32 v28, 16, v17
	v_fma_f16 v54, v11, v7, v54
	v_mul_f16_sdwa v7, v11, v7 dst_sel:DWORD dst_unused:UNUSED_PAD src0_sel:WORD_1 src1_sel:DWORD
	v_fma_f16 v7, v11, v27, -v7
	v_mul_f16_sdwa v11, v12, v28 dst_sel:DWORD dst_unused:UNUSED_PAD src0_sel:WORD_1 src1_sel:DWORD
	v_lshrrev_b32_e32 v35, 16, v8
	v_fma_f16 v11, v12, v17, v11
	v_mul_f16_sdwa v17, v12, v17 dst_sel:DWORD dst_unused:UNUSED_PAD src0_sel:WORD_1 src1_sel:DWORD
	ds_read2_b32 v[23:24], v34 offset0:126 offset1:177
	v_fma_f16 v12, v12, v28, -v17
	v_mul_f16_sdwa v17, v15, v35 dst_sel:DWORD dst_unused:UNUSED_PAD src0_sel:WORD_1 src1_sel:DWORD
	v_lshrrev_b32_e32 v36, 16, v18
	v_fma_f16 v17, v15, v8, v17
	v_mul_f16_sdwa v8, v15, v8 dst_sel:DWORD dst_unused:UNUSED_PAD src0_sel:WORD_1 src1_sel:DWORD
	v_fma_f16 v8, v15, v35, -v8
	v_mul_f16_sdwa v15, v16, v36 dst_sel:DWORD dst_unused:UNUSED_PAD src0_sel:WORD_1 src1_sel:DWORD
	s_waitcnt lgkmcnt(1)
	v_lshrrev_b32_e32 v38, 16, v21
	v_fma_f16 v15, v16, v18, v15
	v_mul_f16_sdwa v18, v16, v18 dst_sel:DWORD dst_unused:UNUSED_PAD src0_sel:WORD_1 src1_sel:DWORD
	v_fma_f16 v16, v16, v36, -v18
	v_mul_f16_sdwa v18, v13, v38 dst_sel:DWORD dst_unused:UNUSED_PAD src0_sel:WORD_1 src1_sel:DWORD
	s_waitcnt lgkmcnt(0)
	v_lshrrev_b32_e32 v39, 16, v23
	v_fma_f16 v18, v13, v21, v18
	v_mul_f16_sdwa v21, v13, v21 dst_sel:DWORD dst_unused:UNUSED_PAD src0_sel:WORD_1 src1_sel:DWORD
	v_fma_f16 v13, v13, v38, -v21
	v_mul_f16_sdwa v21, v14, v39 dst_sel:DWORD dst_unused:UNUSED_PAD src0_sel:WORD_1 src1_sel:DWORD
	v_lshrrev_b32_e32 v52, 16, v22
	v_fma_f16 v21, v14, v23, v21
	v_mul_f16_sdwa v23, v14, v23 dst_sel:DWORD dst_unused:UNUSED_PAD src0_sel:WORD_1 src1_sel:DWORD
	v_fma_f16 v14, v14, v39, -v23
	v_mul_f16_sdwa v23, v9, v52 dst_sel:DWORD dst_unused:UNUSED_PAD src0_sel:WORD_1 src1_sel:DWORD
	;; [unrolled: 5-line block ×3, first 2 shown]
	v_fma_f16 v22, v10, v24, v22
	v_mul_f16_sdwa v24, v10, v24 dst_sel:DWORD dst_unused:UNUSED_PAD src0_sel:WORD_1 src1_sel:DWORD
	v_add_f16_e32 v27, v54, v11
	v_lshrrev_b32_e32 v26, 16, v5
	v_fma_f16 v10, v10, v53, -v24
	v_add_f16_e32 v24, v5, v54
	v_fma_f16 v5, v27, -0.5, v5
	v_sub_f16_e32 v27, v7, v12
	s_mov_b32 s1, 0xbaee
	s_movk_i32 s0, 0x3aee
	v_fma_f16 v28, v27, s1, v5
	v_fma_f16 v5, v27, s0, v5
	v_add_f16_e32 v27, v26, v7
	v_add_f16_e32 v7, v7, v12
	v_add_f16_e32 v24, v24, v11
	v_fma_f16 v7, v7, -0.5, v26
	v_sub_f16_e32 v11, v54, v11
	v_add_f16_e32 v26, v17, v15
	v_lshrrev_b32_e32 v32, 16, v6
	v_add_f16_e32 v27, v27, v12
	v_fma_f16 v12, v11, s0, v7
	v_fma_f16 v7, v11, s1, v7
	v_add_f16_e32 v11, v6, v17
	v_fma_f16 v6, v26, -0.5, v6
	v_sub_f16_e32 v26, v8, v16
	v_fma_f16 v35, v26, s1, v6
	v_fma_f16 v6, v26, s0, v6
	v_add_f16_e32 v26, v32, v8
	v_add_f16_e32 v8, v8, v16
	;; [unrolled: 1-line block ×3, first 2 shown]
	v_fma_f16 v8, v8, -0.5, v32
	v_sub_f16_e32 v15, v17, v15
	v_add_f16_e32 v17, v18, v21
	v_lshrrev_b32_e32 v37, 16, v19
	v_add_f16_e32 v26, v26, v16
	v_fma_f16 v16, v15, s0, v8
	v_fma_f16 v8, v15, s1, v8
	v_add_f16_e32 v15, v19, v18
	v_fma_f16 v17, v17, -0.5, v19
	v_sub_f16_e32 v19, v13, v14
	v_fma_f16 v32, v19, s1, v17
	v_fma_f16 v17, v19, s0, v17
	v_add_f16_e32 v19, v37, v13
	v_add_f16_e32 v13, v13, v14
	;; [unrolled: 1-line block ×4, first 2 shown]
	v_fma_f16 v13, v13, -0.5, v37
	v_sub_f16_e32 v14, v18, v21
	v_add_f16_e32 v21, v23, v22
	v_lshrrev_b32_e32 v51, 16, v20
	v_fma_f16 v18, v14, s0, v13
	v_fma_f16 v13, v14, s1, v13
	v_add_f16_e32 v14, v20, v23
	v_fma_f16 v20, v21, -0.5, v20
	v_sub_f16_e32 v21, v9, v10
	v_fma_f16 v36, v21, s1, v20
	v_fma_f16 v20, v21, s0, v20
	v_add_f16_e32 v21, v51, v9
	v_add_f16_e32 v9, v9, v10
	;; [unrolled: 1-line block ×3, first 2 shown]
	v_fma_f16 v9, v9, -0.5, v51
	v_sub_f16_e32 v10, v23, v22
	v_pack_b32_f16 v5, v5, v7
	v_add_f16_e32 v14, v14, v22
	v_fma_f16 v22, v10, s0, v9
	v_fma_f16 v9, v10, s1, v9
	s_waitcnt lgkmcnt(0)
	; wave barrier
	v_pack_b32_f16 v10, v24, v27
	v_pack_b32_f16 v12, v28, v12
	ds_write_b32 v41, v5 offset:136
	v_pack_b32_f16 v5, v11, v26
	v_pack_b32_f16 v7, v35, v16
	ds_write2_b32 v41, v10, v12 offset1:17
	ds_write2_b32 v42, v5, v7 offset1:17
	v_pack_b32_f16 v5, v6, v8
	ds_write_b32 v42, v5 offset:136
	v_pack_b32_f16 v5, v15, v19
	v_pack_b32_f16 v6, v32, v18
	ds_write2_b32 v43, v5, v6 offset1:17
	v_pack_b32_f16 v5, v17, v13
	ds_write_b32 v43, v5 offset:136
	v_pack_b32_f16 v5, v14, v21
	v_pack_b32_f16 v6, v36, v22
	ds_write2_b32 v44, v5, v6 offset1:17
	v_pack_b32_f16 v5, v20, v9
	ds_write_b32 v44, v5 offset:136
	s_waitcnt lgkmcnt(0)
	; wave barrier
	s_waitcnt lgkmcnt(0)
	ds_read2_b32 v[5:6], v33 offset1:51
	ds_read2_b32 v[7:8], v33 offset0:102 offset1:153
	ds_read2_b32 v[9:10], v33 offset0:204 offset1:255
	;; [unrolled: 1-line block ×5, first 2 shown]
	s_waitcnt lgkmcnt(4)
	v_lshrrev_b32_e32 v18, 16, v7
	v_mul_f16_sdwa v35, v0, v18 dst_sel:DWORD dst_unused:UNUSED_PAD src0_sel:WORD_1 src1_sel:DWORD
	s_waitcnt lgkmcnt(3)
	v_lshrrev_b32_e32 v19, 16, v9
	v_fma_f16 v35, v0, v7, v35
	v_mul_f16_sdwa v7, v0, v7 dst_sel:DWORD dst_unused:UNUSED_PAD src0_sel:WORD_1 src1_sel:DWORD
	v_fma_f16 v7, v0, v18, -v7
	v_mul_f16_sdwa v18, v1, v19 dst_sel:DWORD dst_unused:UNUSED_PAD src0_sel:WORD_1 src1_sel:DWORD
	s_waitcnt lgkmcnt(2)
	v_lshrrev_b32_e32 v20, 16, v11
	v_fma_f16 v18, v1, v9, v18
	v_mul_f16_sdwa v9, v1, v9 dst_sel:DWORD dst_unused:UNUSED_PAD src0_sel:WORD_1 src1_sel:DWORD
	v_fma_f16 v9, v1, v19, -v9
	;; [unrolled: 6-line block ×4, first 2 shown]
	v_mul_f16_sdwa v21, v40, v22 dst_sel:DWORD dst_unused:UNUSED_PAD src0_sel:WORD_1 src1_sel:DWORD
	v_lshrrev_b32_e32 v24, 16, v8
	v_fma_f16 v21, v40, v15, v21
	v_mul_f16_sdwa v15, v40, v15 dst_sel:DWORD dst_unused:UNUSED_PAD src0_sel:WORD_1 src1_sel:DWORD
	v_fma_f16 v15, v40, v22, -v15
	v_mul_f16_sdwa v22, v0, v24 dst_sel:DWORD dst_unused:UNUSED_PAD src0_sel:WORD_1 src1_sel:DWORD
	v_lshrrev_b32_e32 v26, 16, v10
	v_fma_f16 v22, v0, v8, v22
	v_mul_f16_sdwa v8, v0, v8 dst_sel:DWORD dst_unused:UNUSED_PAD src0_sel:WORD_1 src1_sel:DWORD
	v_fma_f16 v0, v0, v24, -v8
	;; [unrolled: 5-line block ×3, first 2 shown]
	v_mul_f16_sdwa v10, v2, v27 dst_sel:DWORD dst_unused:UNUSED_PAD src0_sel:WORD_1 src1_sel:DWORD
	v_add_f16_e32 v26, v18, v20
	v_lshrrev_b32_e32 v17, 16, v5
	v_fma_f16 v10, v2, v12, v10
	v_mul_f16_sdwa v12, v2, v12 dst_sel:DWORD dst_unused:UNUSED_PAD src0_sel:WORD_1 src1_sel:DWORD
	v_add_f16_e32 v24, v5, v18
	v_fma_f16 v5, v26, -0.5, v5
	v_sub_f16_e32 v26, v9, v13
	v_lshrrev_b32_e32 v28, 16, v14
	v_fma_f16 v2, v2, v27, -v12
	v_fma_f16 v27, v26, s1, v5
	v_fma_f16 v5, v26, s0, v5
	v_add_f16_e32 v26, v17, v9
	v_mul_f16_sdwa v12, v3, v28 dst_sel:DWORD dst_unused:UNUSED_PAD src0_sel:WORD_1 src1_sel:DWORD
	v_add_f16_e32 v26, v26, v13
	v_add_f16_e32 v9, v9, v13
	v_sub_f16_e32 v13, v18, v20
	v_add_f16_e32 v18, v19, v21
	v_fma_f16 v12, v3, v14, v12
	v_mul_f16_sdwa v14, v3, v14 dst_sel:DWORD dst_unused:UNUSED_PAD src0_sel:WORD_1 src1_sel:DWORD
	v_add_f16_e32 v24, v24, v20
	v_fma_f16 v18, v18, -0.5, v35
	v_sub_f16_e32 v20, v11, v15
	v_fma_f16 v3, v3, v28, -v14
	v_fma_f16 v28, v20, s1, v18
	v_fma_f16 v18, v20, s0, v18
	v_add_f16_e32 v20, v7, v11
	v_add_f16_e32 v11, v11, v15
	v_lshrrev_b32_e32 v32, 16, v16
	v_fma_f16 v7, v11, -0.5, v7
	v_sub_f16_e32 v11, v19, v21
	v_mul_f16_sdwa v14, v40, v32 dst_sel:DWORD dst_unused:UNUSED_PAD src0_sel:WORD_1 src1_sel:DWORD
	v_fma_f16 v9, v9, -0.5, v17
	v_add_f16_e32 v20, v20, v15
	v_fma_f16 v15, v11, s0, v7
	v_fma_f16 v14, v40, v16, v14
	v_mul_f16_sdwa v16, v40, v16 dst_sel:DWORD dst_unused:UNUSED_PAD src0_sel:WORD_1 src1_sel:DWORD
	v_fma_f16 v17, v13, s0, v9
	v_fma_f16 v9, v13, s1, v9
	v_add_f16_e32 v13, v35, v19
	v_fma_f16 v7, v11, s1, v7
	v_mul_f16_e32 v19, 0xbaee, v15
	v_mul_f16_e32 v15, 0.5, v15
	v_fma_f16 v16, v40, v32, -v16
	v_mul_f16_e32 v32, 0xbaee, v7
	v_fma_f16 v15, v28, s0, v15
	v_mul_f16_e32 v7, -0.5, v7
	v_fma_f16 v19, v28, 0.5, v19
	v_add_f16_e32 v28, v17, v15
	v_fma_f16 v7, v18, s0, v7
	v_sub_f16_e32 v15, v17, v15
	v_add_f16_e32 v17, v8, v12
	v_lshrrev_b32_e32 v23, 16, v6
	v_add_f16_e32 v13, v13, v21
	v_fma_f16 v32, v18, -0.5, v32
	v_add_f16_e32 v18, v9, v7
	v_sub_f16_e32 v7, v9, v7
	v_add_f16_e32 v9, v6, v8
	v_fma_f16 v6, v17, -0.5, v6
	v_sub_f16_e32 v17, v1, v3
	v_add_f16_e32 v11, v24, v13
	v_sub_f16_e32 v13, v24, v13
	v_fma_f16 v24, v17, s1, v6
	v_fma_f16 v6, v17, s0, v6
	v_add_f16_e32 v17, v23, v1
	v_add_f16_e32 v1, v1, v3
	;; [unrolled: 1-line block ×4, first 2 shown]
	v_fma_f16 v1, v1, -0.5, v23
	v_sub_f16_e32 v3, v8, v12
	v_add_f16_e32 v12, v10, v14
	v_fma_f16 v8, v3, s0, v1
	v_fma_f16 v1, v3, s1, v1
	v_add_f16_e32 v3, v22, v10
	v_fma_f16 v12, v12, -0.5, v22
	v_sub_f16_e32 v22, v2, v16
	v_fma_f16 v23, v22, s1, v12
	v_fma_f16 v12, v22, s0, v12
	v_add_f16_e32 v22, v0, v2
	v_add_f16_e32 v2, v2, v16
	v_fma_f16 v0, v2, -0.5, v0
	v_sub_f16_e32 v2, v10, v14
	v_fma_f16 v10, v2, s0, v0
	v_fma_f16 v0, v2, s1, v0
	v_add_f16_e32 v36, v26, v20
	v_sub_f16_e32 v20, v26, v20
	v_add_f16_e32 v3, v3, v14
	v_mul_f16_e32 v14, 0xbaee, v10
	v_mul_f16_e32 v26, 0xbaee, v0
	v_mul_f16_e32 v10, 0.5, v10
	v_mul_f16_e32 v0, -0.5, v0
	v_add_f16_e32 v21, v27, v19
	v_fma_f16 v10, v23, s0, v10
	v_fma_f16 v0, v12, s0, v0
	v_add_f16_e32 v35, v5, v32
	v_fma_f16 v14, v23, 0.5, v14
	v_fma_f16 v26, v12, -0.5, v26
	v_add_f16_e32 v23, v8, v10
	v_add_f16_e32 v12, v1, v0
	v_sub_f16_e32 v8, v8, v10
	v_sub_f16_e32 v0, v1, v0
	v_pack_b32_f16 v1, v11, v36
	v_pack_b32_f16 v10, v21, v28
	v_sub_f16_e32 v19, v27, v19
	v_sub_f16_e32 v5, v5, v32
	v_add_f16_e32 v22, v22, v16
	s_waitcnt lgkmcnt(0)
	; wave barrier
	ds_write2_b32 v33, v1, v10 offset1:51
	v_pack_b32_f16 v1, v35, v18
	v_pack_b32_f16 v10, v13, v20
	v_add_f16_e32 v2, v9, v3
	v_add_f16_e32 v16, v24, v14
	;; [unrolled: 1-line block ×3, first 2 shown]
	ds_write2_b32 v33, v1, v10 offset0:102 offset1:153
	v_pack_b32_f16 v1, v19, v15
	v_pack_b32_f16 v5, v5, v7
	v_add_f16_e32 v27, v6, v26
	v_sub_f16_e32 v3, v9, v3
	v_sub_f16_e32 v9, v24, v14
	;; [unrolled: 1-line block ×3, first 2 shown]
	ds_write2_b32 v33, v1, v5 offset0:204 offset1:255
	v_pack_b32_f16 v1, v2, v32
	v_pack_b32_f16 v2, v16, v23
	v_sub_f16_e32 v6, v6, v26
	ds_write2_b32 v25, v1, v2 offset0:50 offset1:101
	v_pack_b32_f16 v1, v27, v12
	v_pack_b32_f16 v2, v3, v14
	ds_write2_b32 v25, v1, v2 offset0:152 offset1:203
	v_pack_b32_f16 v1, v9, v8
	v_pack_b32_f16 v0, v6, v0
	ds_write2_b32 v34, v1, v0 offset0:126 offset1:177
	s_waitcnt lgkmcnt(0)
	; wave barrier
	s_waitcnt lgkmcnt(0)
	ds_read2_b32 v[0:1], v33 offset1:51
	ds_read2_b32 v[2:3], v25 offset0:50 offset1:101
	ds_read2_b32 v[7:8], v25 offset0:152 offset1:203
	;; [unrolled: 1-line block ×5, first 2 shown]
	s_waitcnt lgkmcnt(5)
	v_lshrrev_b32_e32 v13, 16, v0
	s_waitcnt lgkmcnt(4)
	v_lshrrev_b32_e32 v14, 16, v2
	v_mul_f16_sdwa v26, v45, v14 dst_sel:DWORD dst_unused:UNUSED_PAD src0_sel:WORD_1 src1_sel:DWORD
	v_lshrrev_b32_e32 v16, 16, v3
	v_fma_f16 v26, v45, v2, v26
	v_mul_f16_sdwa v2, v45, v2 dst_sel:DWORD dst_unused:UNUSED_PAD src0_sel:WORD_1 src1_sel:DWORD
	v_fma_f16 v2, v45, v14, -v2
	v_mul_f16_sdwa v14, v46, v16 dst_sel:DWORD dst_unused:UNUSED_PAD src0_sel:WORD_1 src1_sel:DWORD
	s_waitcnt lgkmcnt(3)
	v_lshrrev_b32_e32 v18, 16, v7
	v_fma_f16 v14, v46, v3, v14
	v_mul_f16_sdwa v3, v46, v3 dst_sel:DWORD dst_unused:UNUSED_PAD src0_sel:WORD_1 src1_sel:DWORD
	v_fma_f16 v3, v46, v16, -v3
	v_mul_f16_sdwa v16, v47, v18 dst_sel:DWORD dst_unused:UNUSED_PAD src0_sel:WORD_1 src1_sel:DWORD
	v_lshrrev_b32_e32 v20, 16, v8
	v_fma_f16 v16, v47, v7, v16
	v_mul_f16_sdwa v7, v47, v7 dst_sel:DWORD dst_unused:UNUSED_PAD src0_sel:WORD_1 src1_sel:DWORD
	v_fma_f16 v7, v47, v18, -v7
	v_mul_f16_sdwa v18, v48, v20 dst_sel:DWORD dst_unused:UNUSED_PAD src0_sel:WORD_1 src1_sel:DWORD
	s_waitcnt lgkmcnt(0)
	v_lshrrev_b32_e32 v22, 16, v11
	v_fma_f16 v18, v48, v8, v18
	v_mul_f16_sdwa v8, v48, v8 dst_sel:DWORD dst_unused:UNUSED_PAD src0_sel:WORD_1 src1_sel:DWORD
	v_fma_f16 v8, v48, v20, -v8
	v_mul_f16_sdwa v20, v49, v22 dst_sel:DWORD dst_unused:UNUSED_PAD src0_sel:WORD_1 src1_sel:DWORD
	v_lshrrev_b32_e32 v24, 16, v12
	v_fma_f16 v20, v49, v11, v20
	v_mul_f16_sdwa v11, v49, v11 dst_sel:DWORD dst_unused:UNUSED_PAD src0_sel:WORD_1 src1_sel:DWORD
	v_fma_f16 v11, v49, v22, -v11
	v_mul_f16_sdwa v22, v50, v24 dst_sel:DWORD dst_unused:UNUSED_PAD src0_sel:WORD_1 src1_sel:DWORD
	v_lshrrev_b32_e32 v15, 16, v1
	v_fma_f16 v22, v50, v12, v22
	v_mul_f16_sdwa v12, v50, v12 dst_sel:DWORD dst_unused:UNUSED_PAD src0_sel:WORD_1 src1_sel:DWORD
	v_fma_f16 v12, v50, v24, -v12
	v_sub_f16_e32 v24, v0, v26
	v_sub_f16_e32 v2, v13, v2
	;; [unrolled: 1-line block ×4, first 2 shown]
	v_lshrrev_b32_e32 v17, 16, v5
	v_lshrrev_b32_e32 v19, 16, v6
	v_fma_f16 v0, v0, 2.0, -v24
	v_fma_f16 v13, v13, 2.0, -v2
	v_fma_f16 v1, v1, 2.0, -v14
	v_fma_f16 v15, v15, 2.0, -v3
	v_sub_f16_e32 v16, v5, v16
	v_sub_f16_e32 v7, v17, v7
	;; [unrolled: 1-line block ×4, first 2 shown]
	v_pack_b32_f16 v0, v0, v13
	v_pack_b32_f16 v1, v1, v15
	v_lshrrev_b32_e32 v21, 16, v9
	v_lshrrev_b32_e32 v23, 16, v10
	v_fma_f16 v5, v5, 2.0, -v16
	v_fma_f16 v17, v17, 2.0, -v7
	;; [unrolled: 1-line block ×4, first 2 shown]
	v_pack_b32_f16 v2, v24, v2
	ds_write2_b32 v33, v0, v1 offset1:51
	v_pack_b32_f16 v0, v14, v3
	v_sub_f16_e32 v20, v9, v20
	v_sub_f16_e32 v11, v21, v11
	;; [unrolled: 1-line block ×4, first 2 shown]
	ds_write2_b32 v25, v2, v0 offset0:50 offset1:101
	v_pack_b32_f16 v0, v5, v17
	v_pack_b32_f16 v2, v6, v19
	v_fma_f16 v9, v9, 2.0, -v20
	v_fma_f16 v21, v21, 2.0, -v11
	;; [unrolled: 1-line block ×4, first 2 shown]
	v_pack_b32_f16 v1, v16, v7
	ds_write2_b32 v33, v0, v2 offset0:102 offset1:153
	v_pack_b32_f16 v0, v18, v8
	ds_write2_b32 v25, v1, v0 offset0:152 offset1:203
	v_pack_b32_f16 v0, v9, v21
	v_pack_b32_f16 v2, v10, v23
	;; [unrolled: 1-line block ×3, first 2 shown]
	ds_write2_b32 v33, v0, v2 offset0:204 offset1:255
	v_pack_b32_f16 v0, v22, v12
	ds_write2_b32 v34, v1, v0 offset0:126 offset1:177
	s_waitcnt lgkmcnt(0)
	; wave barrier
	s_waitcnt lgkmcnt(0)
	s_and_b64 exec, exec, vcc
	s_cbranch_execz .LBB0_15
; %bb.14:
	global_load_dword v8, v30, s[6:7]
	v_mad_u64_u32 v[5:6], s[0:1], s8, v29, 0
	v_mad_u64_u32 v[1:2], s[0:1], s10, v4, 0
	ds_read_b32 v9, v33
	v_mov_b32_e32 v3, v6
	v_mad_u64_u32 v[6:7], s[0:1], s11, v4, v[2:3]
	v_mad_u64_u32 v[3:4], s[0:1], s9, v29, v[3:4]
	s_waitcnt lgkmcnt(0)
	v_lshrrev_b32_e32 v4, 16, v9
	v_mov_b32_e32 v2, v6
	v_mov_b32_e32 v6, v3
	s_mov_b32 s14, 0x1ac5701b
	s_mov_b32 s15, 0x3f5ac570
	v_lshlrev_b64 v[1:2], 2, v[1:2]
	v_mov_b32_e32 v10, s13
	v_lshlrev_b64 v[5:6], 2, v[5:6]
	v_add_co_u32_e32 v1, vcc, s12, v1
	v_addc_co_u32_e32 v2, vcc, v10, v2, vcc
	s_movk_i32 s16, 0x1ff
	v_add_co_u32_e32 v5, vcc, v1, v5
	v_addc_co_u32_e32 v6, vcc, v2, v6, vcc
	s_movk_i32 s10, 0xffe
	v_mov_b32_e32 v0, 0x7c00
	s_movk_i32 s18, 0x40f
	s_mov_b32 s17, 0x8000
	s_mul_hi_u32 s12, s8, 0x90
	s_mul_i32 s11, s8, 0x90
	s_waitcnt vmcnt(0)
	v_mul_f16_sdwa v3, v4, v8 dst_sel:DWORD dst_unused:UNUSED_PAD src0_sel:DWORD src1_sel:WORD_1
	v_fma_f16 v3, v9, v8, v3
	v_mul_f16_sdwa v7, v9, v8 dst_sel:DWORD dst_unused:UNUSED_PAD src0_sel:DWORD src1_sel:WORD_1
	v_cvt_f32_f16_e32 v3, v3
	v_fma_f16 v4, v8, v4, -v7
	v_cvt_f32_f16_e32 v7, v4
	v_cvt_f64_f32_e32 v[3:4], v3
	v_cvt_f64_f32_e32 v[7:8], v7
	v_mul_f64 v[3:4], v[3:4], s[14:15]
	v_mul_f64 v[7:8], v[7:8], s[14:15]
	v_and_or_b32 v3, v4, s16, v3
	v_cmp_ne_u32_e32 vcc, 0, v3
	v_and_or_b32 v7, v8, s16, v7
	v_lshrrev_b32_e32 v9, 8, v4
	v_bfe_u32 v10, v4, 20, 11
	v_cndmask_b32_e64 v3, 0, 1, vcc
	v_cmp_ne_u32_e32 vcc, 0, v7
	v_lshrrev_b32_e32 v11, 8, v8
	v_bfe_u32 v12, v8, 20, 11
	v_sub_u32_e32 v13, 0x3f1, v10
	v_cndmask_b32_e64 v7, 0, 1, vcc
	v_and_or_b32 v3, v9, s10, v3
	v_sub_u32_e32 v14, 0x3f1, v12
	v_med3_i32 v9, v13, 0, 13
	v_and_or_b32 v7, v11, s10, v7
	v_or_b32_e32 v13, 0x1000, v3
	v_add_u32_e32 v10, 0xfffffc10, v10
	v_med3_i32 v11, v14, 0, 13
	v_cmp_ne_u32_e32 vcc, 0, v3
	v_or_b32_e32 v15, 0x1000, v7
	v_lshrrev_b32_e32 v17, v9, v13
	v_add_u32_e32 v12, 0xfffffc10, v12
	v_lshl_or_b32 v14, v10, 12, v3
	v_cndmask_b32_e64 v3, 0, 1, vcc
	v_cmp_ne_u32_e32 vcc, 0, v7
	v_lshrrev_b32_e32 v18, v11, v15
	v_lshlrev_b32_e32 v9, v9, v17
	v_lshl_or_b32 v16, v12, 12, v7
	v_cndmask_b32_e64 v7, 0, 1, vcc
	v_lshlrev_b32_e32 v11, v11, v18
	v_cmp_ne_u32_e32 vcc, v9, v13
	v_cndmask_b32_e64 v9, 0, 1, vcc
	v_cmp_ne_u32_e32 vcc, v11, v15
	v_cndmask_b32_e64 v11, 0, 1, vcc
	v_or_b32_e32 v9, v17, v9
	v_cmp_gt_i32_e32 vcc, 1, v10
	v_cndmask_b32_e32 v9, v14, v9, vcc
	v_or_b32_e32 v11, v18, v11
	v_cmp_gt_i32_e32 vcc, 1, v12
	v_and_b32_e32 v13, 7, v9
	v_cndmask_b32_e32 v11, v16, v11, vcc
	v_cmp_lt_i32_e32 vcc, 5, v13
	v_cmp_eq_u32_e64 s[0:1], 3, v13
	v_lshrrev_b32_e32 v9, 2, v9
	v_and_b32_e32 v14, 7, v11
	s_or_b64 vcc, s[0:1], vcc
	v_cmp_lt_i32_e64 s[2:3], 5, v14
	v_cmp_eq_u32_e64 s[4:5], 3, v14
	v_addc_co_u32_e32 v9, vcc, 0, v9, vcc
	v_lshrrev_b32_e32 v11, 2, v11
	s_or_b64 vcc, s[4:5], s[2:3]
	v_addc_co_u32_e32 v11, vcc, 0, v11, vcc
	v_cmp_gt_i32_e32 vcc, 31, v10
	v_cndmask_b32_e32 v9, v0, v9, vcc
	v_cmp_gt_i32_e32 vcc, 31, v12
	v_lshl_or_b32 v3, v3, 9, v0
	v_cndmask_b32_e32 v11, v0, v11, vcc
	v_cmp_eq_u32_e32 vcc, s18, v10
	v_lshrrev_b32_e32 v4, 16, v4
	v_lshl_or_b32 v7, v7, 9, v0
	v_cndmask_b32_e32 v3, v9, v3, vcc
	v_cmp_eq_u32_e32 vcc, s18, v12
	v_lshrrev_b32_e32 v8, 16, v8
	v_cndmask_b32_e32 v7, v11, v7, vcc
	v_and_or_b32 v3, v4, s17, v3
	v_and_or_b32 v4, v8, s17, v7
	v_and_b32_e32 v3, 0xffff, v3
	v_lshl_or_b32 v3, v4, 16, v3
	global_store_dword v[5:6], v3, off
	global_load_dword v7, v30, s[6:7] offset:144
	ds_read2_b32 v[3:4], v31 offset0:36 offset1:72
	s_mul_i32 s0, s9, 0x90
	s_add_i32 s12, s12, s0
	v_add_co_u32_e32 v5, vcc, s11, v5
	s_waitcnt lgkmcnt(0)
	v_lshrrev_b32_e32 v8, 16, v3
	s_waitcnt vmcnt(0)
	v_mul_f16_sdwa v9, v8, v7 dst_sel:DWORD dst_unused:UNUSED_PAD src0_sel:DWORD src1_sel:WORD_1
	v_fma_f16 v9, v3, v7, v9
	v_mul_f16_sdwa v3, v3, v7 dst_sel:DWORD dst_unused:UNUSED_PAD src0_sel:DWORD src1_sel:WORD_1
	v_cvt_f32_f16_e32 v9, v9
	v_fma_f16 v3, v7, v8, -v3
	v_cvt_f32_f16_e32 v3, v3
	v_cvt_f64_f32_e32 v[7:8], v9
	v_cvt_f64_f32_e32 v[9:10], v3
	v_mov_b32_e32 v3, s12
	v_mul_f64 v[7:8], v[7:8], s[14:15]
	v_addc_co_u32_e32 v6, vcc, v6, v3, vcc
	v_mul_f64 v[9:10], v[9:10], s[14:15]
	v_and_or_b32 v3, v8, s16, v7
	v_cmp_ne_u32_e32 vcc, 0, v3
	v_lshrrev_b32_e32 v7, 8, v8
	v_and_or_b32 v9, v10, s16, v9
	v_bfe_u32 v11, v8, 20, 11
	v_cndmask_b32_e64 v3, 0, 1, vcc
	v_cmp_ne_u32_e32 vcc, 0, v9
	v_lshrrev_b32_e32 v12, 8, v10
	v_bfe_u32 v13, v10, 20, 11
	v_sub_u32_e32 v14, 0x3f1, v11
	v_cndmask_b32_e64 v9, 0, 1, vcc
	v_and_or_b32 v3, v7, s10, v3
	v_sub_u32_e32 v15, 0x3f1, v13
	v_med3_i32 v7, v14, 0, 13
	v_and_or_b32 v9, v12, s10, v9
	v_or_b32_e32 v14, 0x1000, v3
	v_add_u32_e32 v11, 0xfffffc10, v11
	v_med3_i32 v12, v15, 0, 13
	v_cmp_ne_u32_e32 vcc, 0, v3
	v_or_b32_e32 v16, 0x1000, v9
	v_lshrrev_b32_e32 v18, v7, v14
	v_add_u32_e32 v13, 0xfffffc10, v13
	v_lshl_or_b32 v15, v11, 12, v3
	v_cndmask_b32_e64 v3, 0, 1, vcc
	v_cmp_ne_u32_e32 vcc, 0, v9
	v_lshrrev_b32_e32 v19, v12, v16
	v_lshlrev_b32_e32 v7, v7, v18
	v_lshl_or_b32 v17, v13, 12, v9
	v_cndmask_b32_e64 v9, 0, 1, vcc
	v_lshlrev_b32_e32 v12, v12, v19
	v_cmp_ne_u32_e32 vcc, v7, v14
	v_cndmask_b32_e64 v7, 0, 1, vcc
	v_cmp_ne_u32_e32 vcc, v12, v16
	v_cndmask_b32_e64 v12, 0, 1, vcc
	v_or_b32_e32 v7, v18, v7
	v_cmp_gt_i32_e32 vcc, 1, v11
	v_cndmask_b32_e32 v7, v15, v7, vcc
	v_or_b32_e32 v12, v19, v12
	v_cmp_gt_i32_e32 vcc, 1, v13
	v_and_b32_e32 v14, 7, v7
	v_cndmask_b32_e32 v12, v17, v12, vcc
	v_cmp_lt_i32_e32 vcc, 5, v14
	v_cmp_eq_u32_e64 s[0:1], 3, v14
	v_lshrrev_b32_e32 v7, 2, v7
	v_and_b32_e32 v15, 7, v12
	s_or_b64 vcc, s[0:1], vcc
	v_cmp_lt_i32_e64 s[2:3], 5, v15
	v_cmp_eq_u32_e64 s[4:5], 3, v15
	v_addc_co_u32_e32 v7, vcc, 0, v7, vcc
	v_lshrrev_b32_e32 v12, 2, v12
	s_or_b64 vcc, s[4:5], s[2:3]
	v_addc_co_u32_e32 v12, vcc, 0, v12, vcc
	v_cmp_gt_i32_e32 vcc, 31, v11
	v_cndmask_b32_e32 v7, v0, v7, vcc
	v_cmp_gt_i32_e32 vcc, 31, v13
	v_lshl_or_b32 v3, v3, 9, v0
	v_cndmask_b32_e32 v12, v0, v12, vcc
	v_cmp_eq_u32_e32 vcc, s18, v11
	v_lshrrev_b32_e32 v8, 16, v8
	v_lshl_or_b32 v9, v9, 9, v0
	v_cndmask_b32_e32 v3, v7, v3, vcc
	v_cmp_eq_u32_e32 vcc, s18, v13
	v_lshrrev_b32_e32 v10, 16, v10
	v_cndmask_b32_e32 v7, v12, v9, vcc
	v_and_or_b32 v3, v8, s17, v3
	v_and_or_b32 v7, v10, s17, v7
	v_and_b32_e32 v3, 0xffff, v3
	v_lshl_or_b32 v3, v7, 16, v3
	global_store_dword v[5:6], v3, off
	global_load_dword v3, v30, s[6:7] offset:288
	v_lshrrev_b32_e32 v7, 16, v4
	v_mov_b32_e32 v9, s12
	v_add_co_u32_e32 v5, vcc, s11, v5
	v_addc_co_u32_e32 v6, vcc, v6, v9, vcc
	s_waitcnt vmcnt(0)
	v_mul_f16_sdwa v8, v7, v3 dst_sel:DWORD dst_unused:UNUSED_PAD src0_sel:DWORD src1_sel:WORD_1
	v_fma_f16 v8, v4, v3, v8
	v_mul_f16_sdwa v4, v4, v3 dst_sel:DWORD dst_unused:UNUSED_PAD src0_sel:DWORD src1_sel:WORD_1
	v_cvt_f32_f16_e32 v8, v8
	v_fma_f16 v3, v3, v7, -v4
	v_cvt_f32_f16_e32 v7, v3
	v_cvt_f64_f32_e32 v[3:4], v8
	v_cvt_f64_f32_e32 v[7:8], v7
	v_mul_f64 v[3:4], v[3:4], s[14:15]
	v_mul_f64 v[7:8], v[7:8], s[14:15]
	v_and_or_b32 v3, v4, s16, v3
	v_cmp_ne_u32_e32 vcc, 0, v3
	v_and_or_b32 v7, v8, s16, v7
	v_lshrrev_b32_e32 v9, 8, v4
	v_bfe_u32 v10, v4, 20, 11
	v_cndmask_b32_e64 v3, 0, 1, vcc
	v_cmp_ne_u32_e32 vcc, 0, v7
	v_lshrrev_b32_e32 v11, 8, v8
	v_bfe_u32 v12, v8, 20, 11
	v_sub_u32_e32 v13, 0x3f1, v10
	v_cndmask_b32_e64 v7, 0, 1, vcc
	v_and_or_b32 v3, v9, s10, v3
	v_sub_u32_e32 v14, 0x3f1, v12
	v_med3_i32 v9, v13, 0, 13
	v_and_or_b32 v7, v11, s10, v7
	v_or_b32_e32 v13, 0x1000, v3
	v_add_u32_e32 v10, 0xfffffc10, v10
	v_med3_i32 v11, v14, 0, 13
	v_cmp_ne_u32_e32 vcc, 0, v3
	v_or_b32_e32 v15, 0x1000, v7
	v_lshrrev_b32_e32 v17, v9, v13
	v_add_u32_e32 v12, 0xfffffc10, v12
	v_lshl_or_b32 v14, v10, 12, v3
	v_cndmask_b32_e64 v3, 0, 1, vcc
	v_cmp_ne_u32_e32 vcc, 0, v7
	v_lshrrev_b32_e32 v18, v11, v15
	v_lshlrev_b32_e32 v9, v9, v17
	v_lshl_or_b32 v16, v12, 12, v7
	v_cndmask_b32_e64 v7, 0, 1, vcc
	v_lshlrev_b32_e32 v11, v11, v18
	v_cmp_ne_u32_e32 vcc, v9, v13
	v_cndmask_b32_e64 v9, 0, 1, vcc
	v_cmp_ne_u32_e32 vcc, v11, v15
	v_cndmask_b32_e64 v11, 0, 1, vcc
	v_or_b32_e32 v9, v17, v9
	v_cmp_gt_i32_e32 vcc, 1, v10
	v_cndmask_b32_e32 v9, v14, v9, vcc
	v_or_b32_e32 v11, v18, v11
	v_cmp_gt_i32_e32 vcc, 1, v12
	v_and_b32_e32 v13, 7, v9
	v_cndmask_b32_e32 v11, v16, v11, vcc
	v_cmp_lt_i32_e32 vcc, 5, v13
	v_cmp_eq_u32_e64 s[0:1], 3, v13
	v_lshrrev_b32_e32 v9, 2, v9
	v_and_b32_e32 v14, 7, v11
	s_or_b64 vcc, s[0:1], vcc
	v_cmp_lt_i32_e64 s[2:3], 5, v14
	v_cmp_eq_u32_e64 s[4:5], 3, v14
	v_addc_co_u32_e32 v9, vcc, 0, v9, vcc
	v_lshrrev_b32_e32 v11, 2, v11
	s_or_b64 vcc, s[4:5], s[2:3]
	v_addc_co_u32_e32 v11, vcc, 0, v11, vcc
	v_cmp_gt_i32_e32 vcc, 31, v10
	v_cndmask_b32_e32 v9, v0, v9, vcc
	v_cmp_gt_i32_e32 vcc, 31, v12
	v_lshl_or_b32 v3, v3, 9, v0
	v_cndmask_b32_e32 v11, v0, v11, vcc
	v_cmp_eq_u32_e32 vcc, s18, v10
	v_lshrrev_b32_e32 v4, 16, v4
	v_lshl_or_b32 v7, v7, 9, v0
	v_cndmask_b32_e32 v3, v9, v3, vcc
	v_cmp_eq_u32_e32 vcc, s18, v12
	v_lshrrev_b32_e32 v8, 16, v8
	v_cndmask_b32_e32 v7, v11, v7, vcc
	v_and_or_b32 v3, v4, s17, v3
	v_and_or_b32 v4, v8, s17, v7
	v_and_b32_e32 v3, 0xffff, v3
	v_lshl_or_b32 v3, v4, 16, v3
	global_store_dword v[5:6], v3, off
	global_load_dword v7, v30, s[6:7] offset:432
	ds_read2_b32 v[3:4], v31 offset0:108 offset1:144
	v_add_co_u32_e32 v5, vcc, s11, v5
	s_waitcnt lgkmcnt(0)
	v_lshrrev_b32_e32 v8, 16, v3
	s_waitcnt vmcnt(0)
	v_mul_f16_sdwa v9, v8, v7 dst_sel:DWORD dst_unused:UNUSED_PAD src0_sel:DWORD src1_sel:WORD_1
	v_fma_f16 v9, v3, v7, v9
	v_mul_f16_sdwa v3, v3, v7 dst_sel:DWORD dst_unused:UNUSED_PAD src0_sel:DWORD src1_sel:WORD_1
	v_cvt_f32_f16_e32 v9, v9
	v_fma_f16 v3, v7, v8, -v3
	v_cvt_f32_f16_e32 v3, v3
	v_cvt_f64_f32_e32 v[7:8], v9
	v_cvt_f64_f32_e32 v[9:10], v3
	v_mov_b32_e32 v3, s12
	v_mul_f64 v[7:8], v[7:8], s[14:15]
	v_addc_co_u32_e32 v6, vcc, v6, v3, vcc
	v_mul_f64 v[9:10], v[9:10], s[14:15]
	v_and_or_b32 v3, v8, s16, v7
	v_cmp_ne_u32_e32 vcc, 0, v3
	v_lshrrev_b32_e32 v7, 8, v8
	v_and_or_b32 v9, v10, s16, v9
	v_bfe_u32 v11, v8, 20, 11
	v_cndmask_b32_e64 v3, 0, 1, vcc
	v_cmp_ne_u32_e32 vcc, 0, v9
	v_lshrrev_b32_e32 v12, 8, v10
	v_bfe_u32 v13, v10, 20, 11
	v_sub_u32_e32 v14, 0x3f1, v11
	v_cndmask_b32_e64 v9, 0, 1, vcc
	v_and_or_b32 v3, v7, s10, v3
	v_sub_u32_e32 v15, 0x3f1, v13
	v_med3_i32 v7, v14, 0, 13
	v_and_or_b32 v9, v12, s10, v9
	v_or_b32_e32 v14, 0x1000, v3
	v_add_u32_e32 v11, 0xfffffc10, v11
	v_med3_i32 v12, v15, 0, 13
	v_cmp_ne_u32_e32 vcc, 0, v3
	v_or_b32_e32 v16, 0x1000, v9
	v_lshrrev_b32_e32 v18, v7, v14
	v_add_u32_e32 v13, 0xfffffc10, v13
	v_lshl_or_b32 v15, v11, 12, v3
	v_cndmask_b32_e64 v3, 0, 1, vcc
	v_cmp_ne_u32_e32 vcc, 0, v9
	v_lshrrev_b32_e32 v19, v12, v16
	v_lshlrev_b32_e32 v7, v7, v18
	v_lshl_or_b32 v17, v13, 12, v9
	v_cndmask_b32_e64 v9, 0, 1, vcc
	v_lshlrev_b32_e32 v12, v12, v19
	v_cmp_ne_u32_e32 vcc, v7, v14
	v_cndmask_b32_e64 v7, 0, 1, vcc
	v_cmp_ne_u32_e32 vcc, v12, v16
	v_cndmask_b32_e64 v12, 0, 1, vcc
	v_or_b32_e32 v7, v18, v7
	v_cmp_gt_i32_e32 vcc, 1, v11
	v_cndmask_b32_e32 v7, v15, v7, vcc
	v_or_b32_e32 v12, v19, v12
	v_cmp_gt_i32_e32 vcc, 1, v13
	v_and_b32_e32 v14, 7, v7
	v_cndmask_b32_e32 v12, v17, v12, vcc
	v_cmp_lt_i32_e32 vcc, 5, v14
	v_cmp_eq_u32_e64 s[0:1], 3, v14
	v_lshrrev_b32_e32 v7, 2, v7
	v_and_b32_e32 v15, 7, v12
	s_or_b64 vcc, s[0:1], vcc
	v_cmp_lt_i32_e64 s[2:3], 5, v15
	v_cmp_eq_u32_e64 s[4:5], 3, v15
	v_addc_co_u32_e32 v7, vcc, 0, v7, vcc
	v_lshrrev_b32_e32 v12, 2, v12
	s_or_b64 vcc, s[4:5], s[2:3]
	v_addc_co_u32_e32 v12, vcc, 0, v12, vcc
	v_cmp_gt_i32_e32 vcc, 31, v11
	v_cndmask_b32_e32 v7, v0, v7, vcc
	v_cmp_gt_i32_e32 vcc, 31, v13
	v_lshl_or_b32 v3, v3, 9, v0
	v_cndmask_b32_e32 v12, v0, v12, vcc
	v_cmp_eq_u32_e32 vcc, s18, v11
	v_lshrrev_b32_e32 v8, 16, v8
	v_lshl_or_b32 v9, v9, 9, v0
	v_cndmask_b32_e32 v3, v7, v3, vcc
	v_cmp_eq_u32_e32 vcc, s18, v13
	v_lshrrev_b32_e32 v10, 16, v10
	v_cndmask_b32_e32 v7, v12, v9, vcc
	v_and_or_b32 v3, v8, s17, v3
	v_and_or_b32 v7, v10, s17, v7
	v_and_b32_e32 v3, 0xffff, v3
	v_lshl_or_b32 v3, v7, 16, v3
	global_store_dword v[5:6], v3, off
	global_load_dword v3, v30, s[6:7] offset:576
	v_lshrrev_b32_e32 v7, 16, v4
	v_mov_b32_e32 v9, s12
	v_add_co_u32_e32 v5, vcc, s11, v5
	v_addc_co_u32_e32 v6, vcc, v6, v9, vcc
	s_waitcnt vmcnt(0)
	v_mul_f16_sdwa v8, v7, v3 dst_sel:DWORD dst_unused:UNUSED_PAD src0_sel:DWORD src1_sel:WORD_1
	v_fma_f16 v8, v4, v3, v8
	v_mul_f16_sdwa v4, v4, v3 dst_sel:DWORD dst_unused:UNUSED_PAD src0_sel:DWORD src1_sel:WORD_1
	v_cvt_f32_f16_e32 v8, v8
	v_fma_f16 v3, v3, v7, -v4
	v_cvt_f32_f16_e32 v7, v3
	v_cvt_f64_f32_e32 v[3:4], v8
	v_cvt_f64_f32_e32 v[7:8], v7
	v_mul_f64 v[3:4], v[3:4], s[14:15]
	v_mul_f64 v[7:8], v[7:8], s[14:15]
	v_and_or_b32 v3, v4, s16, v3
	v_cmp_ne_u32_e32 vcc, 0, v3
	v_and_or_b32 v7, v8, s16, v7
	v_lshrrev_b32_e32 v9, 8, v4
	v_bfe_u32 v10, v4, 20, 11
	v_cndmask_b32_e64 v3, 0, 1, vcc
	v_cmp_ne_u32_e32 vcc, 0, v7
	v_lshrrev_b32_e32 v11, 8, v8
	v_bfe_u32 v12, v8, 20, 11
	v_sub_u32_e32 v13, 0x3f1, v10
	v_cndmask_b32_e64 v7, 0, 1, vcc
	v_and_or_b32 v3, v9, s10, v3
	v_sub_u32_e32 v14, 0x3f1, v12
	v_med3_i32 v9, v13, 0, 13
	v_and_or_b32 v7, v11, s10, v7
	v_or_b32_e32 v13, 0x1000, v3
	v_add_u32_e32 v10, 0xfffffc10, v10
	v_med3_i32 v11, v14, 0, 13
	v_cmp_ne_u32_e32 vcc, 0, v3
	v_or_b32_e32 v15, 0x1000, v7
	v_lshrrev_b32_e32 v17, v9, v13
	v_add_u32_e32 v12, 0xfffffc10, v12
	v_lshl_or_b32 v14, v10, 12, v3
	v_cndmask_b32_e64 v3, 0, 1, vcc
	v_cmp_ne_u32_e32 vcc, 0, v7
	v_lshrrev_b32_e32 v18, v11, v15
	v_lshlrev_b32_e32 v9, v9, v17
	v_lshl_or_b32 v16, v12, 12, v7
	v_cndmask_b32_e64 v7, 0, 1, vcc
	v_lshlrev_b32_e32 v11, v11, v18
	v_cmp_ne_u32_e32 vcc, v9, v13
	v_cndmask_b32_e64 v9, 0, 1, vcc
	v_cmp_ne_u32_e32 vcc, v11, v15
	v_cndmask_b32_e64 v11, 0, 1, vcc
	v_or_b32_e32 v9, v17, v9
	v_cmp_gt_i32_e32 vcc, 1, v10
	v_cndmask_b32_e32 v9, v14, v9, vcc
	v_or_b32_e32 v11, v18, v11
	v_cmp_gt_i32_e32 vcc, 1, v12
	v_and_b32_e32 v13, 7, v9
	v_cndmask_b32_e32 v11, v16, v11, vcc
	v_cmp_lt_i32_e32 vcc, 5, v13
	v_cmp_eq_u32_e64 s[0:1], 3, v13
	v_lshrrev_b32_e32 v9, 2, v9
	v_and_b32_e32 v14, 7, v11
	s_or_b64 vcc, s[0:1], vcc
	v_cmp_lt_i32_e64 s[2:3], 5, v14
	v_cmp_eq_u32_e64 s[4:5], 3, v14
	v_addc_co_u32_e32 v9, vcc, 0, v9, vcc
	v_lshrrev_b32_e32 v11, 2, v11
	s_or_b64 vcc, s[4:5], s[2:3]
	v_addc_co_u32_e32 v11, vcc, 0, v11, vcc
	v_cmp_gt_i32_e32 vcc, 31, v10
	v_cndmask_b32_e32 v9, v0, v9, vcc
	v_cmp_gt_i32_e32 vcc, 31, v12
	v_lshl_or_b32 v3, v3, 9, v0
	v_cndmask_b32_e32 v11, v0, v11, vcc
	v_cmp_eq_u32_e32 vcc, s18, v10
	v_lshrrev_b32_e32 v4, 16, v4
	v_lshl_or_b32 v7, v7, 9, v0
	v_cndmask_b32_e32 v3, v9, v3, vcc
	v_cmp_eq_u32_e32 vcc, s18, v12
	v_lshrrev_b32_e32 v8, 16, v8
	v_cndmask_b32_e32 v7, v11, v7, vcc
	v_and_or_b32 v3, v4, s17, v3
	v_and_or_b32 v4, v8, s17, v7
	v_and_b32_e32 v3, 0xffff, v3
	v_lshl_or_b32 v3, v4, 16, v3
	global_store_dword v[5:6], v3, off
	global_load_dword v7, v30, s[6:7] offset:720
	ds_read2_b32 v[3:4], v31 offset0:180 offset1:216
	v_add_co_u32_e32 v5, vcc, s11, v5
	s_waitcnt lgkmcnt(0)
	v_lshrrev_b32_e32 v8, 16, v3
	s_waitcnt vmcnt(0)
	v_mul_f16_sdwa v9, v8, v7 dst_sel:DWORD dst_unused:UNUSED_PAD src0_sel:DWORD src1_sel:WORD_1
	v_fma_f16 v9, v3, v7, v9
	v_mul_f16_sdwa v3, v3, v7 dst_sel:DWORD dst_unused:UNUSED_PAD src0_sel:DWORD src1_sel:WORD_1
	v_cvt_f32_f16_e32 v9, v9
	v_fma_f16 v3, v7, v8, -v3
	v_cvt_f32_f16_e32 v3, v3
	v_cvt_f64_f32_e32 v[7:8], v9
	v_cvt_f64_f32_e32 v[9:10], v3
	v_mov_b32_e32 v3, s12
	v_mul_f64 v[7:8], v[7:8], s[14:15]
	v_addc_co_u32_e32 v6, vcc, v6, v3, vcc
	v_mul_f64 v[9:10], v[9:10], s[14:15]
	v_and_or_b32 v3, v8, s16, v7
	v_cmp_ne_u32_e32 vcc, 0, v3
	v_lshrrev_b32_e32 v7, 8, v8
	v_and_or_b32 v9, v10, s16, v9
	v_bfe_u32 v11, v8, 20, 11
	v_cndmask_b32_e64 v3, 0, 1, vcc
	v_cmp_ne_u32_e32 vcc, 0, v9
	v_lshrrev_b32_e32 v12, 8, v10
	v_bfe_u32 v13, v10, 20, 11
	v_sub_u32_e32 v14, 0x3f1, v11
	v_cndmask_b32_e64 v9, 0, 1, vcc
	v_and_or_b32 v3, v7, s10, v3
	v_sub_u32_e32 v15, 0x3f1, v13
	v_med3_i32 v7, v14, 0, 13
	v_and_or_b32 v9, v12, s10, v9
	v_or_b32_e32 v14, 0x1000, v3
	v_add_u32_e32 v11, 0xfffffc10, v11
	v_med3_i32 v12, v15, 0, 13
	v_cmp_ne_u32_e32 vcc, 0, v3
	v_or_b32_e32 v16, 0x1000, v9
	v_lshrrev_b32_e32 v18, v7, v14
	v_add_u32_e32 v13, 0xfffffc10, v13
	v_lshl_or_b32 v15, v11, 12, v3
	v_cndmask_b32_e64 v3, 0, 1, vcc
	v_cmp_ne_u32_e32 vcc, 0, v9
	v_lshrrev_b32_e32 v19, v12, v16
	v_lshlrev_b32_e32 v7, v7, v18
	v_lshl_or_b32 v17, v13, 12, v9
	v_cndmask_b32_e64 v9, 0, 1, vcc
	v_lshlrev_b32_e32 v12, v12, v19
	v_cmp_ne_u32_e32 vcc, v7, v14
	v_cndmask_b32_e64 v7, 0, 1, vcc
	v_cmp_ne_u32_e32 vcc, v12, v16
	v_cndmask_b32_e64 v12, 0, 1, vcc
	v_or_b32_e32 v7, v18, v7
	v_cmp_gt_i32_e32 vcc, 1, v11
	v_cndmask_b32_e32 v7, v15, v7, vcc
	v_or_b32_e32 v12, v19, v12
	v_cmp_gt_i32_e32 vcc, 1, v13
	v_and_b32_e32 v14, 7, v7
	v_cndmask_b32_e32 v12, v17, v12, vcc
	v_cmp_lt_i32_e32 vcc, 5, v14
	v_cmp_eq_u32_e64 s[0:1], 3, v14
	v_lshrrev_b32_e32 v7, 2, v7
	v_and_b32_e32 v15, 7, v12
	s_or_b64 vcc, s[0:1], vcc
	v_cmp_lt_i32_e64 s[2:3], 5, v15
	v_cmp_eq_u32_e64 s[4:5], 3, v15
	v_addc_co_u32_e32 v7, vcc, 0, v7, vcc
	v_lshrrev_b32_e32 v12, 2, v12
	s_or_b64 vcc, s[4:5], s[2:3]
	v_addc_co_u32_e32 v12, vcc, 0, v12, vcc
	v_cmp_gt_i32_e32 vcc, 31, v11
	v_cndmask_b32_e32 v7, v0, v7, vcc
	v_cmp_gt_i32_e32 vcc, 31, v13
	v_lshl_or_b32 v3, v3, 9, v0
	v_cndmask_b32_e32 v12, v0, v12, vcc
	v_cmp_eq_u32_e32 vcc, s18, v11
	v_lshrrev_b32_e32 v8, 16, v8
	v_lshl_or_b32 v9, v9, 9, v0
	v_cndmask_b32_e32 v3, v7, v3, vcc
	v_cmp_eq_u32_e32 vcc, s18, v13
	v_lshrrev_b32_e32 v10, 16, v10
	v_cndmask_b32_e32 v7, v12, v9, vcc
	v_and_or_b32 v3, v8, s17, v3
	v_and_or_b32 v7, v10, s17, v7
	v_and_b32_e32 v3, 0xffff, v3
	v_lshl_or_b32 v3, v7, 16, v3
	global_store_dword v[5:6], v3, off
	global_load_dword v3, v30, s[6:7] offset:864
	v_lshrrev_b32_e32 v7, 16, v4
	v_mov_b32_e32 v9, s12
	v_add_co_u32_e32 v5, vcc, s11, v5
	v_addc_co_u32_e32 v6, vcc, v6, v9, vcc
	s_waitcnt vmcnt(0)
	v_mul_f16_sdwa v8, v7, v3 dst_sel:DWORD dst_unused:UNUSED_PAD src0_sel:DWORD src1_sel:WORD_1
	v_fma_f16 v8, v4, v3, v8
	v_mul_f16_sdwa v4, v4, v3 dst_sel:DWORD dst_unused:UNUSED_PAD src0_sel:DWORD src1_sel:WORD_1
	v_cvt_f32_f16_e32 v8, v8
	v_fma_f16 v3, v3, v7, -v4
	v_cvt_f32_f16_e32 v7, v3
	v_cvt_f64_f32_e32 v[3:4], v8
	v_cvt_f64_f32_e32 v[7:8], v7
	v_mul_f64 v[3:4], v[3:4], s[14:15]
	v_mul_f64 v[7:8], v[7:8], s[14:15]
	v_and_or_b32 v3, v4, s16, v3
	v_cmp_ne_u32_e32 vcc, 0, v3
	v_and_or_b32 v7, v8, s16, v7
	v_lshrrev_b32_e32 v9, 8, v4
	v_bfe_u32 v10, v4, 20, 11
	v_cndmask_b32_e64 v3, 0, 1, vcc
	v_cmp_ne_u32_e32 vcc, 0, v7
	v_lshrrev_b32_e32 v11, 8, v8
	v_bfe_u32 v12, v8, 20, 11
	v_sub_u32_e32 v13, 0x3f1, v10
	v_cndmask_b32_e64 v7, 0, 1, vcc
	v_and_or_b32 v3, v9, s10, v3
	v_sub_u32_e32 v14, 0x3f1, v12
	v_med3_i32 v9, v13, 0, 13
	v_and_or_b32 v7, v11, s10, v7
	v_or_b32_e32 v13, 0x1000, v3
	v_add_u32_e32 v10, 0xfffffc10, v10
	v_med3_i32 v11, v14, 0, 13
	v_cmp_ne_u32_e32 vcc, 0, v3
	v_or_b32_e32 v15, 0x1000, v7
	v_lshrrev_b32_e32 v17, v9, v13
	v_add_u32_e32 v12, 0xfffffc10, v12
	v_lshl_or_b32 v14, v10, 12, v3
	v_cndmask_b32_e64 v3, 0, 1, vcc
	v_cmp_ne_u32_e32 vcc, 0, v7
	v_lshrrev_b32_e32 v18, v11, v15
	v_lshlrev_b32_e32 v9, v9, v17
	v_lshl_or_b32 v16, v12, 12, v7
	v_cndmask_b32_e64 v7, 0, 1, vcc
	v_lshlrev_b32_e32 v11, v11, v18
	v_cmp_ne_u32_e32 vcc, v9, v13
	v_cndmask_b32_e64 v9, 0, 1, vcc
	v_cmp_ne_u32_e32 vcc, v11, v15
	v_cndmask_b32_e64 v11, 0, 1, vcc
	v_or_b32_e32 v9, v17, v9
	v_cmp_gt_i32_e32 vcc, 1, v10
	v_cndmask_b32_e32 v9, v14, v9, vcc
	v_or_b32_e32 v11, v18, v11
	v_cmp_gt_i32_e32 vcc, 1, v12
	v_and_b32_e32 v13, 7, v9
	v_cndmask_b32_e32 v11, v16, v11, vcc
	v_cmp_lt_i32_e32 vcc, 5, v13
	v_cmp_eq_u32_e64 s[0:1], 3, v13
	v_lshrrev_b32_e32 v9, 2, v9
	v_and_b32_e32 v14, 7, v11
	s_or_b64 vcc, s[0:1], vcc
	v_cmp_lt_i32_e64 s[2:3], 5, v14
	v_cmp_eq_u32_e64 s[4:5], 3, v14
	v_addc_co_u32_e32 v9, vcc, 0, v9, vcc
	v_lshrrev_b32_e32 v11, 2, v11
	s_or_b64 vcc, s[4:5], s[2:3]
	v_addc_co_u32_e32 v11, vcc, 0, v11, vcc
	v_cmp_gt_i32_e32 vcc, 31, v10
	v_cndmask_b32_e32 v9, v0, v9, vcc
	v_cmp_gt_i32_e32 vcc, 31, v12
	v_lshl_or_b32 v3, v3, 9, v0
	v_cndmask_b32_e32 v11, v0, v11, vcc
	v_cmp_eq_u32_e32 vcc, s18, v10
	v_lshrrev_b32_e32 v4, 16, v4
	v_lshl_or_b32 v7, v7, 9, v0
	v_cndmask_b32_e32 v3, v9, v3, vcc
	v_cmp_eq_u32_e32 vcc, s18, v12
	v_lshrrev_b32_e32 v8, 16, v8
	v_cndmask_b32_e32 v7, v11, v7, vcc
	v_and_or_b32 v3, v4, s17, v3
	v_and_or_b32 v4, v8, s17, v7
	v_and_b32_e32 v3, 0xffff, v3
	v_lshl_or_b32 v3, v4, 16, v3
	global_store_dword v[5:6], v3, off
	global_load_dword v7, v30, s[6:7] offset:1008
	v_add_u32_e32 v3, 0x200, v31
	ds_read2_b32 v[3:4], v3 offset0:124 offset1:160
	v_add_co_u32_e32 v5, vcc, s11, v5
	s_waitcnt lgkmcnt(0)
	v_lshrrev_b32_e32 v8, 16, v3
	s_waitcnt vmcnt(0)
	v_mul_f16_sdwa v9, v8, v7 dst_sel:DWORD dst_unused:UNUSED_PAD src0_sel:DWORD src1_sel:WORD_1
	v_fma_f16 v9, v3, v7, v9
	v_mul_f16_sdwa v3, v3, v7 dst_sel:DWORD dst_unused:UNUSED_PAD src0_sel:DWORD src1_sel:WORD_1
	v_cvt_f32_f16_e32 v9, v9
	v_fma_f16 v3, v7, v8, -v3
	v_cvt_f32_f16_e32 v3, v3
	v_cvt_f64_f32_e32 v[7:8], v9
	v_cvt_f64_f32_e32 v[9:10], v3
	v_mov_b32_e32 v3, s12
	v_mul_f64 v[7:8], v[7:8], s[14:15]
	v_addc_co_u32_e32 v6, vcc, v6, v3, vcc
	v_mul_f64 v[9:10], v[9:10], s[14:15]
	v_and_or_b32 v3, v8, s16, v7
	v_cmp_ne_u32_e32 vcc, 0, v3
	v_lshrrev_b32_e32 v7, 8, v8
	v_and_or_b32 v9, v10, s16, v9
	v_bfe_u32 v11, v8, 20, 11
	v_cndmask_b32_e64 v3, 0, 1, vcc
	v_cmp_ne_u32_e32 vcc, 0, v9
	v_lshrrev_b32_e32 v12, 8, v10
	v_bfe_u32 v13, v10, 20, 11
	v_sub_u32_e32 v14, 0x3f1, v11
	v_cndmask_b32_e64 v9, 0, 1, vcc
	v_and_or_b32 v3, v7, s10, v3
	v_sub_u32_e32 v15, 0x3f1, v13
	v_med3_i32 v7, v14, 0, 13
	v_and_or_b32 v9, v12, s10, v9
	v_or_b32_e32 v14, 0x1000, v3
	v_add_u32_e32 v11, 0xfffffc10, v11
	v_med3_i32 v12, v15, 0, 13
	v_cmp_ne_u32_e32 vcc, 0, v3
	v_or_b32_e32 v16, 0x1000, v9
	v_lshrrev_b32_e32 v18, v7, v14
	v_add_u32_e32 v13, 0xfffffc10, v13
	v_lshl_or_b32 v15, v11, 12, v3
	v_cndmask_b32_e64 v3, 0, 1, vcc
	v_cmp_ne_u32_e32 vcc, 0, v9
	v_lshrrev_b32_e32 v19, v12, v16
	v_lshlrev_b32_e32 v7, v7, v18
	v_lshl_or_b32 v17, v13, 12, v9
	v_cndmask_b32_e64 v9, 0, 1, vcc
	v_lshlrev_b32_e32 v12, v12, v19
	v_cmp_ne_u32_e32 vcc, v7, v14
	v_cndmask_b32_e64 v7, 0, 1, vcc
	v_cmp_ne_u32_e32 vcc, v12, v16
	v_cndmask_b32_e64 v12, 0, 1, vcc
	v_or_b32_e32 v7, v18, v7
	v_cmp_gt_i32_e32 vcc, 1, v11
	v_cndmask_b32_e32 v7, v15, v7, vcc
	v_or_b32_e32 v12, v19, v12
	v_cmp_gt_i32_e32 vcc, 1, v13
	v_and_b32_e32 v14, 7, v7
	v_cndmask_b32_e32 v12, v17, v12, vcc
	v_cmp_lt_i32_e32 vcc, 5, v14
	v_cmp_eq_u32_e64 s[0:1], 3, v14
	v_lshrrev_b32_e32 v7, 2, v7
	v_and_b32_e32 v15, 7, v12
	s_or_b64 vcc, s[0:1], vcc
	v_cmp_lt_i32_e64 s[2:3], 5, v15
	v_cmp_eq_u32_e64 s[4:5], 3, v15
	v_addc_co_u32_e32 v7, vcc, 0, v7, vcc
	v_lshrrev_b32_e32 v12, 2, v12
	s_or_b64 vcc, s[4:5], s[2:3]
	v_addc_co_u32_e32 v12, vcc, 0, v12, vcc
	v_cmp_gt_i32_e32 vcc, 31, v11
	v_cndmask_b32_e32 v7, v0, v7, vcc
	v_cmp_gt_i32_e32 vcc, 31, v13
	v_lshl_or_b32 v3, v3, 9, v0
	v_cndmask_b32_e32 v12, v0, v12, vcc
	v_cmp_eq_u32_e32 vcc, s18, v11
	v_lshrrev_b32_e32 v8, 16, v8
	v_lshl_or_b32 v9, v9, 9, v0
	v_cndmask_b32_e32 v3, v7, v3, vcc
	v_cmp_eq_u32_e32 vcc, s18, v13
	v_lshrrev_b32_e32 v10, 16, v10
	v_cndmask_b32_e32 v7, v12, v9, vcc
	v_and_or_b32 v3, v8, s17, v3
	v_and_or_b32 v7, v10, s17, v7
	v_and_b32_e32 v3, 0xffff, v3
	v_lshl_or_b32 v3, v7, 16, v3
	global_store_dword v[5:6], v3, off
	global_load_dword v3, v30, s[6:7] offset:1152
	v_lshrrev_b32_e32 v7, 16, v4
	v_mov_b32_e32 v9, s12
	v_add_co_u32_e32 v5, vcc, s11, v5
	v_addc_co_u32_e32 v6, vcc, v6, v9, vcc
	s_waitcnt vmcnt(0)
	v_mul_f16_sdwa v8, v7, v3 dst_sel:DWORD dst_unused:UNUSED_PAD src0_sel:DWORD src1_sel:WORD_1
	v_fma_f16 v8, v4, v3, v8
	v_mul_f16_sdwa v4, v4, v3 dst_sel:DWORD dst_unused:UNUSED_PAD src0_sel:DWORD src1_sel:WORD_1
	v_cvt_f32_f16_e32 v8, v8
	v_fma_f16 v3, v3, v7, -v4
	v_cvt_f32_f16_e32 v7, v3
	v_cvt_f64_f32_e32 v[3:4], v8
	v_cvt_f64_f32_e32 v[7:8], v7
	v_mul_f64 v[3:4], v[3:4], s[14:15]
	v_mul_f64 v[7:8], v[7:8], s[14:15]
	v_and_or_b32 v3, v4, s16, v3
	v_cmp_ne_u32_e32 vcc, 0, v3
	v_and_or_b32 v7, v8, s16, v7
	v_lshrrev_b32_e32 v9, 8, v4
	v_bfe_u32 v10, v4, 20, 11
	v_cndmask_b32_e64 v3, 0, 1, vcc
	v_cmp_ne_u32_e32 vcc, 0, v7
	v_lshrrev_b32_e32 v11, 8, v8
	v_bfe_u32 v12, v8, 20, 11
	v_sub_u32_e32 v13, 0x3f1, v10
	v_cndmask_b32_e64 v7, 0, 1, vcc
	v_and_or_b32 v3, v9, s10, v3
	v_sub_u32_e32 v14, 0x3f1, v12
	v_med3_i32 v9, v13, 0, 13
	v_and_or_b32 v7, v11, s10, v7
	v_or_b32_e32 v13, 0x1000, v3
	v_add_u32_e32 v10, 0xfffffc10, v10
	v_med3_i32 v11, v14, 0, 13
	v_cmp_ne_u32_e32 vcc, 0, v3
	v_or_b32_e32 v15, 0x1000, v7
	v_lshrrev_b32_e32 v17, v9, v13
	v_add_u32_e32 v12, 0xfffffc10, v12
	v_lshl_or_b32 v14, v10, 12, v3
	v_cndmask_b32_e64 v3, 0, 1, vcc
	v_cmp_ne_u32_e32 vcc, 0, v7
	v_lshrrev_b32_e32 v18, v11, v15
	v_lshlrev_b32_e32 v9, v9, v17
	v_lshl_or_b32 v16, v12, 12, v7
	v_cndmask_b32_e64 v7, 0, 1, vcc
	v_lshlrev_b32_e32 v11, v11, v18
	v_cmp_ne_u32_e32 vcc, v9, v13
	v_cndmask_b32_e64 v9, 0, 1, vcc
	v_cmp_ne_u32_e32 vcc, v11, v15
	v_cndmask_b32_e64 v11, 0, 1, vcc
	v_or_b32_e32 v9, v17, v9
	v_cmp_gt_i32_e32 vcc, 1, v10
	v_cndmask_b32_e32 v9, v14, v9, vcc
	v_or_b32_e32 v11, v18, v11
	v_cmp_gt_i32_e32 vcc, 1, v12
	v_and_b32_e32 v13, 7, v9
	v_cndmask_b32_e32 v11, v16, v11, vcc
	v_cmp_lt_i32_e32 vcc, 5, v13
	v_cmp_eq_u32_e64 s[0:1], 3, v13
	v_lshrrev_b32_e32 v9, 2, v9
	v_and_b32_e32 v14, 7, v11
	s_or_b64 vcc, s[0:1], vcc
	v_cmp_lt_i32_e64 s[2:3], 5, v14
	v_cmp_eq_u32_e64 s[4:5], 3, v14
	v_addc_co_u32_e32 v9, vcc, 0, v9, vcc
	v_lshrrev_b32_e32 v11, 2, v11
	s_or_b64 vcc, s[4:5], s[2:3]
	v_addc_co_u32_e32 v11, vcc, 0, v11, vcc
	v_cmp_gt_i32_e32 vcc, 31, v10
	v_cndmask_b32_e32 v9, v0, v9, vcc
	v_cmp_gt_i32_e32 vcc, 31, v12
	v_lshl_or_b32 v3, v3, 9, v0
	v_cndmask_b32_e32 v11, v0, v11, vcc
	v_cmp_eq_u32_e32 vcc, s18, v10
	v_lshrrev_b32_e32 v4, 16, v4
	v_lshl_or_b32 v7, v7, 9, v0
	v_cndmask_b32_e32 v3, v9, v3, vcc
	v_cmp_eq_u32_e32 vcc, s18, v12
	v_lshrrev_b32_e32 v8, 16, v8
	v_cndmask_b32_e32 v7, v11, v7, vcc
	v_and_or_b32 v3, v4, s17, v3
	v_and_or_b32 v4, v8, s17, v7
	v_and_b32_e32 v3, 0xffff, v3
	v_lshl_or_b32 v3, v4, 16, v3
	global_store_dword v[5:6], v3, off
	global_load_dword v4, v30, s[6:7] offset:1296
	v_add_u32_e32 v3, 0x400, v31
	ds_read2_b32 v[7:8], v3 offset0:68 offset1:104
	s_waitcnt lgkmcnt(0)
	v_lshrrev_b32_e32 v9, 16, v7
	s_waitcnt vmcnt(0)
	v_mul_f16_sdwa v10, v9, v4 dst_sel:DWORD dst_unused:UNUSED_PAD src0_sel:DWORD src1_sel:WORD_1
	v_fma_f16 v10, v7, v4, v10
	v_mul_f16_sdwa v7, v7, v4 dst_sel:DWORD dst_unused:UNUSED_PAD src0_sel:DWORD src1_sel:WORD_1
	v_cvt_f32_f16_e32 v10, v10
	v_fma_f16 v4, v4, v9, -v7
	v_cvt_f32_f16_e32 v4, v4
	v_mov_b32_e32 v7, s12
	v_cvt_f64_f32_e32 v[9:10], v10
	v_cvt_f64_f32_e32 v[11:12], v4
	v_add_co_u32_e32 v4, vcc, s11, v5
	v_mul_f64 v[9:10], v[9:10], s[14:15]
	v_mul_f64 v[11:12], v[11:12], s[14:15]
	v_addc_co_u32_e32 v5, vcc, v6, v7, vcc
	v_and_or_b32 v6, v10, s16, v9
	v_and_or_b32 v11, v12, s16, v11
	v_cmp_ne_u32_e32 vcc, 0, v6
	v_lshrrev_b32_e32 v7, 8, v10
	v_bfe_u32 v9, v10, 20, 11
	v_cndmask_b32_e64 v6, 0, 1, vcc
	v_cmp_ne_u32_e32 vcc, 0, v11
	v_lshrrev_b32_e32 v13, 8, v12
	v_bfe_u32 v14, v12, 20, 11
	v_sub_u32_e32 v15, 0x3f1, v9
	v_cndmask_b32_e64 v11, 0, 1, vcc
	v_and_or_b32 v6, v7, s10, v6
	v_sub_u32_e32 v16, 0x3f1, v14
	v_med3_i32 v7, v15, 0, 13
	v_and_or_b32 v11, v13, s10, v11
	v_or_b32_e32 v15, 0x1000, v6
	v_add_u32_e32 v9, 0xfffffc10, v9
	v_med3_i32 v13, v16, 0, 13
	v_cmp_ne_u32_e32 vcc, 0, v6
	v_or_b32_e32 v17, 0x1000, v11
	v_lshrrev_b32_e32 v19, v7, v15
	v_add_u32_e32 v14, 0xfffffc10, v14
	v_lshl_or_b32 v16, v9, 12, v6
	v_cndmask_b32_e64 v6, 0, 1, vcc
	v_cmp_ne_u32_e32 vcc, 0, v11
	v_lshrrev_b32_e32 v20, v13, v17
	v_lshlrev_b32_e32 v7, v7, v19
	v_lshl_or_b32 v18, v14, 12, v11
	v_cndmask_b32_e64 v11, 0, 1, vcc
	v_lshlrev_b32_e32 v13, v13, v20
	v_cmp_ne_u32_e32 vcc, v7, v15
	v_cndmask_b32_e64 v7, 0, 1, vcc
	v_cmp_ne_u32_e32 vcc, v13, v17
	v_cndmask_b32_e64 v13, 0, 1, vcc
	v_or_b32_e32 v7, v19, v7
	v_cmp_gt_i32_e32 vcc, 1, v9
	v_cndmask_b32_e32 v7, v16, v7, vcc
	v_or_b32_e32 v13, v20, v13
	v_cmp_gt_i32_e32 vcc, 1, v14
	v_and_b32_e32 v15, 7, v7
	v_cndmask_b32_e32 v13, v18, v13, vcc
	v_cmp_lt_i32_e32 vcc, 5, v15
	v_cmp_eq_u32_e64 s[0:1], 3, v15
	v_lshrrev_b32_e32 v7, 2, v7
	v_and_b32_e32 v16, 7, v13
	s_or_b64 vcc, s[0:1], vcc
	v_cmp_lt_i32_e64 s[2:3], 5, v16
	v_cmp_eq_u32_e64 s[4:5], 3, v16
	v_addc_co_u32_e32 v7, vcc, 0, v7, vcc
	v_lshrrev_b32_e32 v13, 2, v13
	s_or_b64 vcc, s[4:5], s[2:3]
	v_addc_co_u32_e32 v13, vcc, 0, v13, vcc
	v_cmp_gt_i32_e32 vcc, 31, v9
	v_cndmask_b32_e32 v7, v0, v7, vcc
	v_cmp_gt_i32_e32 vcc, 31, v14
	v_lshl_or_b32 v6, v6, 9, v0
	v_cndmask_b32_e32 v13, v0, v13, vcc
	v_cmp_eq_u32_e32 vcc, s18, v9
	v_lshrrev_b32_e32 v10, 16, v10
	v_lshl_or_b32 v11, v11, 9, v0
	v_cndmask_b32_e32 v6, v7, v6, vcc
	v_cmp_eq_u32_e32 vcc, s18, v14
	v_lshrrev_b32_e32 v12, 16, v12
	v_cndmask_b32_e32 v7, v13, v11, vcc
	v_and_or_b32 v6, v10, s17, v6
	v_and_or_b32 v7, v12, s17, v7
	v_and_b32_e32 v6, 0xffff, v6
	v_lshl_or_b32 v6, v7, 16, v6
	global_store_dword v[4:5], v6, off
	global_load_dword v6, v30, s[6:7] offset:1440
	v_lshrrev_b32_e32 v7, 16, v8
	v_mov_b32_e32 v10, s12
	v_add_co_u32_e32 v4, vcc, s11, v4
	v_addc_co_u32_e32 v5, vcc, v5, v10, vcc
	s_waitcnt vmcnt(0)
	v_mul_f16_sdwa v9, v7, v6 dst_sel:DWORD dst_unused:UNUSED_PAD src0_sel:DWORD src1_sel:WORD_1
	v_fma_f16 v9, v8, v6, v9
	v_mul_f16_sdwa v8, v8, v6 dst_sel:DWORD dst_unused:UNUSED_PAD src0_sel:DWORD src1_sel:WORD_1
	v_cvt_f32_f16_e32 v9, v9
	v_fma_f16 v6, v6, v7, -v8
	v_cvt_f32_f16_e32 v8, v6
	v_cvt_f64_f32_e32 v[6:7], v9
	v_cvt_f64_f32_e32 v[8:9], v8
	v_mul_f64 v[6:7], v[6:7], s[14:15]
	v_mul_f64 v[8:9], v[8:9], s[14:15]
	v_and_or_b32 v6, v7, s16, v6
	v_cmp_ne_u32_e32 vcc, 0, v6
	v_and_or_b32 v8, v9, s16, v8
	v_lshrrev_b32_e32 v10, 8, v7
	v_bfe_u32 v11, v7, 20, 11
	v_cndmask_b32_e64 v6, 0, 1, vcc
	v_cmp_ne_u32_e32 vcc, 0, v8
	v_lshrrev_b32_e32 v12, 8, v9
	v_bfe_u32 v13, v9, 20, 11
	v_sub_u32_e32 v14, 0x3f1, v11
	v_cndmask_b32_e64 v8, 0, 1, vcc
	v_and_or_b32 v6, v10, s10, v6
	v_sub_u32_e32 v15, 0x3f1, v13
	v_med3_i32 v10, v14, 0, 13
	v_and_or_b32 v8, v12, s10, v8
	v_or_b32_e32 v14, 0x1000, v6
	v_add_u32_e32 v11, 0xfffffc10, v11
	v_med3_i32 v12, v15, 0, 13
	v_cmp_ne_u32_e32 vcc, 0, v6
	v_or_b32_e32 v16, 0x1000, v8
	v_lshrrev_b32_e32 v18, v10, v14
	v_add_u32_e32 v13, 0xfffffc10, v13
	v_lshl_or_b32 v15, v11, 12, v6
	v_cndmask_b32_e64 v6, 0, 1, vcc
	v_cmp_ne_u32_e32 vcc, 0, v8
	v_lshrrev_b32_e32 v19, v12, v16
	v_lshlrev_b32_e32 v10, v10, v18
	v_lshl_or_b32 v17, v13, 12, v8
	v_cndmask_b32_e64 v8, 0, 1, vcc
	v_lshlrev_b32_e32 v12, v12, v19
	v_cmp_ne_u32_e32 vcc, v10, v14
	v_cndmask_b32_e64 v10, 0, 1, vcc
	v_cmp_ne_u32_e32 vcc, v12, v16
	v_cndmask_b32_e64 v12, 0, 1, vcc
	v_or_b32_e32 v10, v18, v10
	v_cmp_gt_i32_e32 vcc, 1, v11
	v_cndmask_b32_e32 v10, v15, v10, vcc
	v_or_b32_e32 v12, v19, v12
	v_cmp_gt_i32_e32 vcc, 1, v13
	v_and_b32_e32 v14, 7, v10
	v_cndmask_b32_e32 v12, v17, v12, vcc
	v_cmp_lt_i32_e32 vcc, 5, v14
	v_cmp_eq_u32_e64 s[0:1], 3, v14
	v_lshrrev_b32_e32 v10, 2, v10
	v_and_b32_e32 v15, 7, v12
	s_or_b64 vcc, s[0:1], vcc
	v_cmp_lt_i32_e64 s[2:3], 5, v15
	v_cmp_eq_u32_e64 s[4:5], 3, v15
	v_addc_co_u32_e32 v10, vcc, 0, v10, vcc
	v_lshrrev_b32_e32 v12, 2, v12
	s_or_b64 vcc, s[4:5], s[2:3]
	v_addc_co_u32_e32 v12, vcc, 0, v12, vcc
	v_cmp_gt_i32_e32 vcc, 31, v11
	v_cndmask_b32_e32 v10, v0, v10, vcc
	v_cmp_gt_i32_e32 vcc, 31, v13
	v_lshl_or_b32 v6, v6, 9, v0
	v_cndmask_b32_e32 v12, v0, v12, vcc
	v_cmp_eq_u32_e32 vcc, s18, v11
	v_lshrrev_b32_e32 v7, 16, v7
	v_lshl_or_b32 v8, v8, 9, v0
	v_cndmask_b32_e32 v6, v10, v6, vcc
	v_cmp_eq_u32_e32 vcc, s18, v13
	v_lshrrev_b32_e32 v9, 16, v9
	v_cndmask_b32_e32 v8, v12, v8, vcc
	v_and_or_b32 v6, v7, s17, v6
	v_and_or_b32 v7, v9, s17, v8
	v_and_b32_e32 v6, 0xffff, v6
	v_lshl_or_b32 v6, v7, 16, v6
	global_store_dword v[4:5], v6, off
	global_load_dword v8, v30, s[6:7] offset:1584
	ds_read2_b32 v[6:7], v3 offset0:140 offset1:176
	v_add_co_u32_e32 v4, vcc, s11, v4
	s_waitcnt lgkmcnt(0)
	v_lshrrev_b32_e32 v9, 16, v6
	s_waitcnt vmcnt(0)
	v_mul_f16_sdwa v10, v9, v8 dst_sel:DWORD dst_unused:UNUSED_PAD src0_sel:DWORD src1_sel:WORD_1
	v_fma_f16 v10, v6, v8, v10
	v_mul_f16_sdwa v6, v6, v8 dst_sel:DWORD dst_unused:UNUSED_PAD src0_sel:DWORD src1_sel:WORD_1
	v_cvt_f32_f16_e32 v10, v10
	v_fma_f16 v6, v8, v9, -v6
	v_cvt_f32_f16_e32 v6, v6
	v_cvt_f64_f32_e32 v[8:9], v10
	v_cvt_f64_f32_e32 v[10:11], v6
	v_mov_b32_e32 v6, s12
	v_mul_f64 v[8:9], v[8:9], s[14:15]
	v_addc_co_u32_e32 v5, vcc, v5, v6, vcc
	v_mul_f64 v[10:11], v[10:11], s[14:15]
	v_and_or_b32 v6, v9, s16, v8
	v_cmp_ne_u32_e32 vcc, 0, v6
	v_lshrrev_b32_e32 v8, 8, v9
	v_and_or_b32 v10, v11, s16, v10
	v_bfe_u32 v12, v9, 20, 11
	v_cndmask_b32_e64 v6, 0, 1, vcc
	v_cmp_ne_u32_e32 vcc, 0, v10
	v_lshrrev_b32_e32 v13, 8, v11
	v_bfe_u32 v14, v11, 20, 11
	v_sub_u32_e32 v15, 0x3f1, v12
	v_cndmask_b32_e64 v10, 0, 1, vcc
	v_and_or_b32 v6, v8, s10, v6
	v_sub_u32_e32 v16, 0x3f1, v14
	v_med3_i32 v8, v15, 0, 13
	v_and_or_b32 v10, v13, s10, v10
	v_or_b32_e32 v15, 0x1000, v6
	v_add_u32_e32 v12, 0xfffffc10, v12
	v_med3_i32 v13, v16, 0, 13
	v_cmp_ne_u32_e32 vcc, 0, v6
	v_or_b32_e32 v17, 0x1000, v10
	v_lshrrev_b32_e32 v19, v8, v15
	v_add_u32_e32 v14, 0xfffffc10, v14
	v_lshl_or_b32 v16, v12, 12, v6
	v_cndmask_b32_e64 v6, 0, 1, vcc
	v_cmp_ne_u32_e32 vcc, 0, v10
	v_lshrrev_b32_e32 v20, v13, v17
	v_lshlrev_b32_e32 v8, v8, v19
	v_lshl_or_b32 v18, v14, 12, v10
	v_cndmask_b32_e64 v10, 0, 1, vcc
	v_lshlrev_b32_e32 v13, v13, v20
	v_cmp_ne_u32_e32 vcc, v8, v15
	v_cndmask_b32_e64 v8, 0, 1, vcc
	v_cmp_ne_u32_e32 vcc, v13, v17
	v_cndmask_b32_e64 v13, 0, 1, vcc
	v_or_b32_e32 v8, v19, v8
	v_cmp_gt_i32_e32 vcc, 1, v12
	v_cndmask_b32_e32 v8, v16, v8, vcc
	v_or_b32_e32 v13, v20, v13
	v_cmp_gt_i32_e32 vcc, 1, v14
	v_and_b32_e32 v15, 7, v8
	v_cndmask_b32_e32 v13, v18, v13, vcc
	v_cmp_lt_i32_e32 vcc, 5, v15
	v_cmp_eq_u32_e64 s[0:1], 3, v15
	v_lshrrev_b32_e32 v8, 2, v8
	v_and_b32_e32 v16, 7, v13
	s_or_b64 vcc, s[0:1], vcc
	v_cmp_lt_i32_e64 s[2:3], 5, v16
	v_cmp_eq_u32_e64 s[4:5], 3, v16
	v_addc_co_u32_e32 v8, vcc, 0, v8, vcc
	v_lshrrev_b32_e32 v13, 2, v13
	s_or_b64 vcc, s[4:5], s[2:3]
	v_addc_co_u32_e32 v13, vcc, 0, v13, vcc
	v_cmp_gt_i32_e32 vcc, 31, v12
	v_cndmask_b32_e32 v8, v0, v8, vcc
	v_cmp_gt_i32_e32 vcc, 31, v14
	v_lshl_or_b32 v6, v6, 9, v0
	v_cndmask_b32_e32 v13, v0, v13, vcc
	v_cmp_eq_u32_e32 vcc, s18, v12
	v_lshrrev_b32_e32 v9, 16, v9
	v_lshl_or_b32 v10, v10, 9, v0
	v_cndmask_b32_e32 v6, v8, v6, vcc
	v_cmp_eq_u32_e32 vcc, s18, v14
	v_lshrrev_b32_e32 v11, 16, v11
	v_cndmask_b32_e32 v8, v13, v10, vcc
	v_and_or_b32 v6, v9, s17, v6
	v_and_or_b32 v8, v11, s17, v8
	v_and_b32_e32 v6, 0xffff, v6
	v_lshl_or_b32 v6, v8, 16, v6
	global_store_dword v[4:5], v6, off
	global_load_dword v6, v30, s[6:7] offset:1728
	v_lshrrev_b32_e32 v8, 16, v7
	v_mov_b32_e32 v10, s12
	v_add_co_u32_e32 v4, vcc, s11, v4
	v_addc_co_u32_e32 v5, vcc, v5, v10, vcc
	s_waitcnt vmcnt(0)
	v_mul_f16_sdwa v9, v8, v6 dst_sel:DWORD dst_unused:UNUSED_PAD src0_sel:DWORD src1_sel:WORD_1
	v_fma_f16 v9, v7, v6, v9
	v_mul_f16_sdwa v7, v7, v6 dst_sel:DWORD dst_unused:UNUSED_PAD src0_sel:DWORD src1_sel:WORD_1
	v_cvt_f32_f16_e32 v9, v9
	v_fma_f16 v6, v6, v8, -v7
	v_cvt_f32_f16_e32 v8, v6
	v_cvt_f64_f32_e32 v[6:7], v9
	v_cvt_f64_f32_e32 v[8:9], v8
	v_mul_f64 v[6:7], v[6:7], s[14:15]
	v_mul_f64 v[8:9], v[8:9], s[14:15]
	v_and_or_b32 v6, v7, s16, v6
	v_cmp_ne_u32_e32 vcc, 0, v6
	v_and_or_b32 v8, v9, s16, v8
	v_lshrrev_b32_e32 v10, 8, v7
	v_bfe_u32 v11, v7, 20, 11
	v_cndmask_b32_e64 v6, 0, 1, vcc
	v_cmp_ne_u32_e32 vcc, 0, v8
	v_lshrrev_b32_e32 v12, 8, v9
	v_bfe_u32 v13, v9, 20, 11
	v_sub_u32_e32 v14, 0x3f1, v11
	v_cndmask_b32_e64 v8, 0, 1, vcc
	v_and_or_b32 v6, v10, s10, v6
	v_sub_u32_e32 v15, 0x3f1, v13
	v_med3_i32 v10, v14, 0, 13
	v_and_or_b32 v8, v12, s10, v8
	v_or_b32_e32 v14, 0x1000, v6
	v_add_u32_e32 v11, 0xfffffc10, v11
	v_med3_i32 v12, v15, 0, 13
	v_cmp_ne_u32_e32 vcc, 0, v6
	v_or_b32_e32 v16, 0x1000, v8
	v_lshrrev_b32_e32 v18, v10, v14
	v_add_u32_e32 v13, 0xfffffc10, v13
	v_lshl_or_b32 v15, v11, 12, v6
	v_cndmask_b32_e64 v6, 0, 1, vcc
	v_cmp_ne_u32_e32 vcc, 0, v8
	v_lshrrev_b32_e32 v19, v12, v16
	v_lshlrev_b32_e32 v10, v10, v18
	v_lshl_or_b32 v17, v13, 12, v8
	v_cndmask_b32_e64 v8, 0, 1, vcc
	v_lshlrev_b32_e32 v12, v12, v19
	v_cmp_ne_u32_e32 vcc, v10, v14
	v_cndmask_b32_e64 v10, 0, 1, vcc
	v_cmp_ne_u32_e32 vcc, v12, v16
	v_cndmask_b32_e64 v12, 0, 1, vcc
	v_or_b32_e32 v10, v18, v10
	v_cmp_gt_i32_e32 vcc, 1, v11
	v_cndmask_b32_e32 v10, v15, v10, vcc
	v_or_b32_e32 v12, v19, v12
	v_cmp_gt_i32_e32 vcc, 1, v13
	v_and_b32_e32 v14, 7, v10
	v_cndmask_b32_e32 v12, v17, v12, vcc
	v_cmp_lt_i32_e32 vcc, 5, v14
	v_cmp_eq_u32_e64 s[0:1], 3, v14
	v_lshrrev_b32_e32 v10, 2, v10
	v_and_b32_e32 v15, 7, v12
	s_or_b64 vcc, s[0:1], vcc
	v_cmp_lt_i32_e64 s[2:3], 5, v15
	v_cmp_eq_u32_e64 s[4:5], 3, v15
	v_addc_co_u32_e32 v10, vcc, 0, v10, vcc
	v_lshrrev_b32_e32 v12, 2, v12
	s_or_b64 vcc, s[4:5], s[2:3]
	v_addc_co_u32_e32 v12, vcc, 0, v12, vcc
	v_cmp_gt_i32_e32 vcc, 31, v11
	v_cndmask_b32_e32 v10, v0, v10, vcc
	v_cmp_gt_i32_e32 vcc, 31, v13
	v_lshl_or_b32 v6, v6, 9, v0
	v_cndmask_b32_e32 v12, v0, v12, vcc
	v_cmp_eq_u32_e32 vcc, s18, v11
	v_lshrrev_b32_e32 v7, 16, v7
	v_lshl_or_b32 v8, v8, 9, v0
	v_cndmask_b32_e32 v6, v10, v6, vcc
	v_cmp_eq_u32_e32 vcc, s18, v13
	v_lshrrev_b32_e32 v9, 16, v9
	v_cndmask_b32_e32 v8, v12, v8, vcc
	v_and_or_b32 v6, v7, s17, v6
	v_and_or_b32 v7, v9, s17, v8
	v_and_b32_e32 v6, 0xffff, v6
	v_lshl_or_b32 v6, v7, 16, v6
	global_store_dword v[4:5], v6, off
	global_load_dword v8, v30, s[6:7] offset:1872
	ds_read2_b32 v[6:7], v3 offset0:212 offset1:248
	s_waitcnt lgkmcnt(0)
	v_lshrrev_b32_e32 v3, 16, v6
	s_waitcnt vmcnt(0)
	v_mul_f16_sdwa v9, v3, v8 dst_sel:DWORD dst_unused:UNUSED_PAD src0_sel:DWORD src1_sel:WORD_1
	v_fma_f16 v9, v6, v8, v9
	v_mul_f16_sdwa v6, v6, v8 dst_sel:DWORD dst_unused:UNUSED_PAD src0_sel:DWORD src1_sel:WORD_1
	v_cvt_f32_f16_e32 v9, v9
	v_fma_f16 v3, v8, v3, -v6
	v_cvt_f32_f16_e32 v3, v3
	v_mov_b32_e32 v6, s12
	v_cvt_f64_f32_e32 v[8:9], v9
	v_cvt_f64_f32_e32 v[10:11], v3
	v_add_co_u32_e32 v3, vcc, s11, v4
	v_mul_f64 v[8:9], v[8:9], s[14:15]
	v_mul_f64 v[10:11], v[10:11], s[14:15]
	v_addc_co_u32_e32 v4, vcc, v5, v6, vcc
	v_and_or_b32 v5, v9, s16, v8
	v_and_or_b32 v10, v11, s16, v10
	v_cmp_ne_u32_e32 vcc, 0, v5
	v_lshrrev_b32_e32 v6, 8, v9
	v_bfe_u32 v8, v9, 20, 11
	v_cndmask_b32_e64 v5, 0, 1, vcc
	v_cmp_ne_u32_e32 vcc, 0, v10
	v_lshrrev_b32_e32 v12, 8, v11
	v_bfe_u32 v13, v11, 20, 11
	v_sub_u32_e32 v14, 0x3f1, v8
	v_cndmask_b32_e64 v10, 0, 1, vcc
	v_and_or_b32 v5, v6, s10, v5
	v_sub_u32_e32 v15, 0x3f1, v13
	v_med3_i32 v6, v14, 0, 13
	v_and_or_b32 v10, v12, s10, v10
	v_or_b32_e32 v14, 0x1000, v5
	v_add_u32_e32 v8, 0xfffffc10, v8
	v_med3_i32 v12, v15, 0, 13
	v_cmp_ne_u32_e32 vcc, 0, v5
	v_or_b32_e32 v16, 0x1000, v10
	v_lshrrev_b32_e32 v18, v6, v14
	v_add_u32_e32 v13, 0xfffffc10, v13
	v_lshl_or_b32 v15, v8, 12, v5
	v_cndmask_b32_e64 v5, 0, 1, vcc
	v_cmp_ne_u32_e32 vcc, 0, v10
	v_lshrrev_b32_e32 v19, v12, v16
	v_lshlrev_b32_e32 v6, v6, v18
	v_lshl_or_b32 v17, v13, 12, v10
	v_cndmask_b32_e64 v10, 0, 1, vcc
	v_lshlrev_b32_e32 v12, v12, v19
	v_cmp_ne_u32_e32 vcc, v6, v14
	v_cndmask_b32_e64 v6, 0, 1, vcc
	v_cmp_ne_u32_e32 vcc, v12, v16
	v_cndmask_b32_e64 v12, 0, 1, vcc
	v_or_b32_e32 v6, v18, v6
	v_cmp_gt_i32_e32 vcc, 1, v8
	v_cndmask_b32_e32 v6, v15, v6, vcc
	v_or_b32_e32 v12, v19, v12
	v_cmp_gt_i32_e32 vcc, 1, v13
	v_and_b32_e32 v14, 7, v6
	v_cndmask_b32_e32 v12, v17, v12, vcc
	v_cmp_lt_i32_e32 vcc, 5, v14
	v_cmp_eq_u32_e64 s[0:1], 3, v14
	v_lshrrev_b32_e32 v6, 2, v6
	v_and_b32_e32 v15, 7, v12
	s_or_b64 vcc, s[0:1], vcc
	v_cmp_lt_i32_e64 s[2:3], 5, v15
	v_cmp_eq_u32_e64 s[4:5], 3, v15
	v_addc_co_u32_e32 v6, vcc, 0, v6, vcc
	v_lshrrev_b32_e32 v12, 2, v12
	s_or_b64 vcc, s[4:5], s[2:3]
	v_addc_co_u32_e32 v12, vcc, 0, v12, vcc
	v_cmp_gt_i32_e32 vcc, 31, v8
	v_cndmask_b32_e32 v6, v0, v6, vcc
	v_cmp_gt_i32_e32 vcc, 31, v13
	v_lshl_or_b32 v5, v5, 9, v0
	v_cndmask_b32_e32 v12, v0, v12, vcc
	v_cmp_eq_u32_e32 vcc, s18, v8
	v_lshrrev_b32_e32 v9, 16, v9
	v_lshl_or_b32 v10, v10, 9, v0
	v_cndmask_b32_e32 v5, v6, v5, vcc
	v_cmp_eq_u32_e32 vcc, s18, v13
	v_lshrrev_b32_e32 v11, 16, v11
	v_cndmask_b32_e32 v6, v12, v10, vcc
	v_and_or_b32 v5, v9, s17, v5
	v_and_or_b32 v6, v11, s17, v6
	v_and_b32_e32 v5, 0xffff, v5
	v_lshl_or_b32 v5, v6, 16, v5
	global_store_dword v[3:4], v5, off
	global_load_dword v5, v30, s[6:7] offset:2016
	v_lshrrev_b32_e32 v6, 16, v7
	v_mov_b32_e32 v9, s12
	v_add_co_u32_e32 v3, vcc, s11, v3
	v_addc_co_u32_e32 v4, vcc, v4, v9, vcc
	s_waitcnt vmcnt(0)
	v_mul_f16_sdwa v8, v6, v5 dst_sel:DWORD dst_unused:UNUSED_PAD src0_sel:DWORD src1_sel:WORD_1
	v_fma_f16 v8, v7, v5, v8
	v_mul_f16_sdwa v7, v7, v5 dst_sel:DWORD dst_unused:UNUSED_PAD src0_sel:DWORD src1_sel:WORD_1
	v_cvt_f32_f16_e32 v8, v8
	v_fma_f16 v5, v5, v6, -v7
	v_cvt_f32_f16_e32 v7, v5
	v_cvt_f64_f32_e32 v[5:6], v8
	v_cvt_f64_f32_e32 v[7:8], v7
	v_mul_f64 v[5:6], v[5:6], s[14:15]
	v_mul_f64 v[7:8], v[7:8], s[14:15]
	v_and_or_b32 v5, v6, s16, v5
	v_cmp_ne_u32_e32 vcc, 0, v5
	v_and_or_b32 v7, v8, s16, v7
	v_lshrrev_b32_e32 v9, 8, v6
	v_bfe_u32 v10, v6, 20, 11
	v_cndmask_b32_e64 v5, 0, 1, vcc
	v_cmp_ne_u32_e32 vcc, 0, v7
	v_lshrrev_b32_e32 v11, 8, v8
	v_bfe_u32 v12, v8, 20, 11
	v_sub_u32_e32 v13, 0x3f1, v10
	v_cndmask_b32_e64 v7, 0, 1, vcc
	v_and_or_b32 v5, v9, s10, v5
	v_sub_u32_e32 v14, 0x3f1, v12
	v_med3_i32 v9, v13, 0, 13
	v_and_or_b32 v7, v11, s10, v7
	v_or_b32_e32 v13, 0x1000, v5
	v_add_u32_e32 v10, 0xfffffc10, v10
	v_med3_i32 v11, v14, 0, 13
	v_cmp_ne_u32_e32 vcc, 0, v5
	v_or_b32_e32 v15, 0x1000, v7
	v_lshrrev_b32_e32 v17, v9, v13
	v_add_u32_e32 v12, 0xfffffc10, v12
	v_lshl_or_b32 v14, v10, 12, v5
	v_cndmask_b32_e64 v5, 0, 1, vcc
	v_cmp_ne_u32_e32 vcc, 0, v7
	v_lshrrev_b32_e32 v18, v11, v15
	v_lshlrev_b32_e32 v9, v9, v17
	v_lshl_or_b32 v16, v12, 12, v7
	v_cndmask_b32_e64 v7, 0, 1, vcc
	v_lshlrev_b32_e32 v11, v11, v18
	v_cmp_ne_u32_e32 vcc, v9, v13
	v_cndmask_b32_e64 v9, 0, 1, vcc
	v_cmp_ne_u32_e32 vcc, v11, v15
	v_cndmask_b32_e64 v11, 0, 1, vcc
	v_or_b32_e32 v9, v17, v9
	v_cmp_gt_i32_e32 vcc, 1, v10
	v_cndmask_b32_e32 v9, v14, v9, vcc
	v_or_b32_e32 v11, v18, v11
	v_cmp_gt_i32_e32 vcc, 1, v12
	v_and_b32_e32 v13, 7, v9
	v_cndmask_b32_e32 v11, v16, v11, vcc
	v_cmp_lt_i32_e32 vcc, 5, v13
	v_cmp_eq_u32_e64 s[0:1], 3, v13
	v_lshrrev_b32_e32 v9, 2, v9
	v_and_b32_e32 v14, 7, v11
	s_or_b64 vcc, s[0:1], vcc
	v_cmp_lt_i32_e64 s[2:3], 5, v14
	v_cmp_eq_u32_e64 s[4:5], 3, v14
	v_addc_co_u32_e32 v9, vcc, 0, v9, vcc
	v_lshrrev_b32_e32 v11, 2, v11
	s_or_b64 vcc, s[4:5], s[2:3]
	v_addc_co_u32_e32 v11, vcc, 0, v11, vcc
	v_cmp_gt_i32_e32 vcc, 31, v10
	v_cndmask_b32_e32 v9, v0, v9, vcc
	v_cmp_gt_i32_e32 vcc, 31, v12
	v_lshl_or_b32 v5, v5, 9, v0
	v_cndmask_b32_e32 v11, v0, v11, vcc
	v_cmp_eq_u32_e32 vcc, s18, v10
	v_lshrrev_b32_e32 v6, 16, v6
	v_lshl_or_b32 v7, v7, 9, v0
	v_cndmask_b32_e32 v5, v9, v5, vcc
	v_cmp_eq_u32_e32 vcc, s18, v12
	v_lshrrev_b32_e32 v8, 16, v8
	v_cndmask_b32_e32 v7, v11, v7, vcc
	v_and_or_b32 v5, v6, s17, v5
	v_and_or_b32 v6, v8, s17, v7
	v_and_b32_e32 v5, 0xffff, v5
	v_lshl_or_b32 v5, v6, 16, v5
	global_store_dword v[3:4], v5, off
	global_load_dword v7, v30, s[6:7] offset:2160
	v_add_u32_e32 v5, 0x800, v31
	ds_read2_b32 v[5:6], v5 offset0:28 offset1:64
	v_add_co_u32_e32 v3, vcc, s11, v3
	s_waitcnt lgkmcnt(0)
	v_lshrrev_b32_e32 v8, 16, v5
	s_waitcnt vmcnt(0)
	v_mul_f16_sdwa v9, v8, v7 dst_sel:DWORD dst_unused:UNUSED_PAD src0_sel:DWORD src1_sel:WORD_1
	v_fma_f16 v9, v5, v7, v9
	v_mul_f16_sdwa v5, v5, v7 dst_sel:DWORD dst_unused:UNUSED_PAD src0_sel:DWORD src1_sel:WORD_1
	v_cvt_f32_f16_e32 v9, v9
	v_fma_f16 v5, v7, v8, -v5
	v_cvt_f32_f16_e32 v5, v5
	v_cvt_f64_f32_e32 v[7:8], v9
	v_cvt_f64_f32_e32 v[9:10], v5
	v_mov_b32_e32 v5, s12
	v_mul_f64 v[7:8], v[7:8], s[14:15]
	v_addc_co_u32_e32 v4, vcc, v4, v5, vcc
	v_mul_f64 v[9:10], v[9:10], s[14:15]
	v_and_or_b32 v5, v8, s16, v7
	v_cmp_ne_u32_e32 vcc, 0, v5
	v_lshrrev_b32_e32 v7, 8, v8
	v_and_or_b32 v9, v10, s16, v9
	v_bfe_u32 v11, v8, 20, 11
	v_cndmask_b32_e64 v5, 0, 1, vcc
	v_cmp_ne_u32_e32 vcc, 0, v9
	v_lshrrev_b32_e32 v12, 8, v10
	v_bfe_u32 v13, v10, 20, 11
	v_sub_u32_e32 v14, 0x3f1, v11
	v_cndmask_b32_e64 v9, 0, 1, vcc
	v_and_or_b32 v5, v7, s10, v5
	v_sub_u32_e32 v15, 0x3f1, v13
	v_med3_i32 v7, v14, 0, 13
	v_and_or_b32 v9, v12, s10, v9
	v_or_b32_e32 v14, 0x1000, v5
	v_add_u32_e32 v11, 0xfffffc10, v11
	v_med3_i32 v12, v15, 0, 13
	v_cmp_ne_u32_e32 vcc, 0, v5
	v_or_b32_e32 v16, 0x1000, v9
	v_lshrrev_b32_e32 v18, v7, v14
	v_add_u32_e32 v13, 0xfffffc10, v13
	v_lshl_or_b32 v15, v11, 12, v5
	v_cndmask_b32_e64 v5, 0, 1, vcc
	v_cmp_ne_u32_e32 vcc, 0, v9
	v_lshrrev_b32_e32 v19, v12, v16
	v_lshlrev_b32_e32 v7, v7, v18
	v_lshl_or_b32 v17, v13, 12, v9
	v_cndmask_b32_e64 v9, 0, 1, vcc
	v_lshlrev_b32_e32 v12, v12, v19
	v_cmp_ne_u32_e32 vcc, v7, v14
	v_cndmask_b32_e64 v7, 0, 1, vcc
	v_cmp_ne_u32_e32 vcc, v12, v16
	v_cndmask_b32_e64 v12, 0, 1, vcc
	v_or_b32_e32 v7, v18, v7
	v_cmp_gt_i32_e32 vcc, 1, v11
	v_cndmask_b32_e32 v7, v15, v7, vcc
	v_or_b32_e32 v12, v19, v12
	v_cmp_gt_i32_e32 vcc, 1, v13
	v_and_b32_e32 v14, 7, v7
	v_cndmask_b32_e32 v12, v17, v12, vcc
	v_cmp_lt_i32_e32 vcc, 5, v14
	v_cmp_eq_u32_e64 s[0:1], 3, v14
	v_lshrrev_b32_e32 v7, 2, v7
	v_and_b32_e32 v15, 7, v12
	s_or_b64 vcc, s[0:1], vcc
	v_cmp_lt_i32_e64 s[2:3], 5, v15
	v_cmp_eq_u32_e64 s[4:5], 3, v15
	v_addc_co_u32_e32 v7, vcc, 0, v7, vcc
	v_lshrrev_b32_e32 v12, 2, v12
	s_or_b64 vcc, s[4:5], s[2:3]
	v_addc_co_u32_e32 v12, vcc, 0, v12, vcc
	v_cmp_gt_i32_e32 vcc, 31, v11
	v_cndmask_b32_e32 v7, v0, v7, vcc
	v_cmp_gt_i32_e32 vcc, 31, v13
	v_lshl_or_b32 v5, v5, 9, v0
	v_cndmask_b32_e32 v12, v0, v12, vcc
	v_cmp_eq_u32_e32 vcc, s18, v11
	v_lshrrev_b32_e32 v8, 16, v8
	v_lshl_or_b32 v9, v9, 9, v0
	v_cndmask_b32_e32 v5, v7, v5, vcc
	v_cmp_eq_u32_e32 vcc, s18, v13
	v_lshrrev_b32_e32 v10, 16, v10
	v_cndmask_b32_e32 v7, v12, v9, vcc
	v_and_or_b32 v5, v8, s17, v5
	v_and_or_b32 v7, v10, s17, v7
	v_and_b32_e32 v5, 0xffff, v5
	v_lshl_or_b32 v5, v7, 16, v5
	global_store_dword v[3:4], v5, off
	global_load_dword v5, v30, s[6:7] offset:2304
	v_lshrrev_b32_e32 v7, 16, v6
	v_or_b32_e32 v9, 0x240, v29
	v_mad_u64_u32 v[3:4], s[0:1], s8, v9, 0
	s_waitcnt vmcnt(0)
	v_mul_f16_sdwa v8, v7, v5 dst_sel:DWORD dst_unused:UNUSED_PAD src0_sel:DWORD src1_sel:WORD_1
	v_fma_f16 v8, v6, v5, v8
	v_cvt_f32_f16_e32 v8, v8
	v_mul_f16_sdwa v6, v6, v5 dst_sel:DWORD dst_unused:UNUSED_PAD src0_sel:DWORD src1_sel:WORD_1
	v_fma_f16 v5, v5, v7, -v6
	v_cvt_f32_f16_e32 v7, v5
	v_cvt_f64_f32_e32 v[5:6], v8
	v_cvt_f64_f32_e32 v[7:8], v7
	v_mul_f64 v[5:6], v[5:6], s[14:15]
	v_mul_f64 v[7:8], v[7:8], s[14:15]
	v_mad_u64_u32 v[9:10], s[0:1], s9, v9, v[4:5]
	v_and_or_b32 v5, v6, s16, v5
	v_and_or_b32 v7, v8, s16, v7
	v_cmp_ne_u32_e32 vcc, 0, v5
	v_mov_b32_e32 v4, v9
	v_lshrrev_b32_e32 v9, 8, v6
	v_bfe_u32 v10, v6, 20, 11
	v_cndmask_b32_e64 v5, 0, 1, vcc
	v_cmp_ne_u32_e32 vcc, 0, v7
	v_lshrrev_b32_e32 v11, 8, v8
	v_bfe_u32 v12, v8, 20, 11
	v_sub_u32_e32 v13, 0x3f1, v10
	v_cndmask_b32_e64 v7, 0, 1, vcc
	v_and_or_b32 v5, v9, s10, v5
	v_sub_u32_e32 v14, 0x3f1, v12
	v_med3_i32 v9, v13, 0, 13
	v_and_or_b32 v7, v11, s10, v7
	v_or_b32_e32 v13, 0x1000, v5
	v_add_u32_e32 v10, 0xfffffc10, v10
	v_med3_i32 v11, v14, 0, 13
	v_cmp_ne_u32_e32 vcc, 0, v5
	v_or_b32_e32 v15, 0x1000, v7
	v_lshrrev_b32_e32 v17, v9, v13
	v_add_u32_e32 v12, 0xfffffc10, v12
	v_lshl_or_b32 v14, v10, 12, v5
	v_cndmask_b32_e64 v5, 0, 1, vcc
	v_cmp_ne_u32_e32 vcc, 0, v7
	v_lshrrev_b32_e32 v18, v11, v15
	v_lshlrev_b32_e32 v9, v9, v17
	v_lshl_or_b32 v16, v12, 12, v7
	v_cndmask_b32_e64 v7, 0, 1, vcc
	v_lshlrev_b32_e32 v11, v11, v18
	v_cmp_ne_u32_e32 vcc, v9, v13
	v_cndmask_b32_e64 v9, 0, 1, vcc
	v_cmp_ne_u32_e32 vcc, v11, v15
	v_cndmask_b32_e64 v11, 0, 1, vcc
	v_or_b32_e32 v9, v17, v9
	v_cmp_gt_i32_e32 vcc, 1, v10
	v_cndmask_b32_e32 v9, v14, v9, vcc
	v_or_b32_e32 v11, v18, v11
	v_cmp_gt_i32_e32 vcc, 1, v12
	v_and_b32_e32 v13, 7, v9
	v_cndmask_b32_e32 v11, v16, v11, vcc
	v_cmp_lt_i32_e32 vcc, 5, v13
	v_cmp_eq_u32_e64 s[0:1], 3, v13
	v_lshrrev_b32_e32 v9, 2, v9
	v_and_b32_e32 v14, 7, v11
	s_or_b64 vcc, s[0:1], vcc
	v_cmp_lt_i32_e64 s[2:3], 5, v14
	v_cmp_eq_u32_e64 s[4:5], 3, v14
	v_addc_co_u32_e32 v9, vcc, 0, v9, vcc
	v_lshrrev_b32_e32 v11, 2, v11
	s_or_b64 vcc, s[4:5], s[2:3]
	v_addc_co_u32_e32 v11, vcc, 0, v11, vcc
	v_cmp_gt_i32_e32 vcc, 31, v10
	v_cndmask_b32_e32 v9, v0, v9, vcc
	v_cmp_gt_i32_e32 vcc, 31, v12
	v_lshl_or_b32 v5, v5, 9, v0
	v_lshl_or_b32 v7, v7, 9, v0
	v_cndmask_b32_e32 v0, v0, v11, vcc
	v_cmp_eq_u32_e32 vcc, s18, v10
	v_lshrrev_b32_e32 v6, 16, v6
	v_cndmask_b32_e32 v5, v9, v5, vcc
	v_cmp_eq_u32_e32 vcc, s18, v12
	v_lshlrev_b64 v[3:4], 2, v[3:4]
	v_lshrrev_b32_e32 v8, 16, v8
	v_cndmask_b32_e32 v0, v0, v7, vcc
	v_and_or_b32 v5, v6, s17, v5
	v_and_or_b32 v0, v8, s17, v0
	v_and_b32_e32 v5, 0xffff, v5
	v_lshl_or_b32 v5, v0, 16, v5
	v_add_co_u32_e32 v0, vcc, v1, v3
	v_addc_co_u32_e32 v1, vcc, v2, v4, vcc
	global_store_dword v[0:1], v5, off
.LBB0_15:
	s_endpgm
	.section	.rodata,"a",@progbits
	.p2align	6, 0x0
	.amdhsa_kernel bluestein_single_back_len612_dim1_half_op_CI_CI
		.amdhsa_group_segment_fixed_size 2448
		.amdhsa_private_segment_fixed_size 0
		.amdhsa_kernarg_size 104
		.amdhsa_user_sgpr_count 6
		.amdhsa_user_sgpr_private_segment_buffer 1
		.amdhsa_user_sgpr_dispatch_ptr 0
		.amdhsa_user_sgpr_queue_ptr 0
		.amdhsa_user_sgpr_kernarg_segment_ptr 1
		.amdhsa_user_sgpr_dispatch_id 0
		.amdhsa_user_sgpr_flat_scratch_init 0
		.amdhsa_user_sgpr_private_segment_size 0
		.amdhsa_uses_dynamic_stack 0
		.amdhsa_system_sgpr_private_segment_wavefront_offset 0
		.amdhsa_system_sgpr_workgroup_id_x 1
		.amdhsa_system_sgpr_workgroup_id_y 0
		.amdhsa_system_sgpr_workgroup_id_z 0
		.amdhsa_system_sgpr_workgroup_info 0
		.amdhsa_system_vgpr_workitem_id 0
		.amdhsa_next_free_vgpr 230
		.amdhsa_next_free_sgpr 48
		.amdhsa_reserve_vcc 1
		.amdhsa_reserve_flat_scratch 0
		.amdhsa_float_round_mode_32 0
		.amdhsa_float_round_mode_16_64 0
		.amdhsa_float_denorm_mode_32 3
		.amdhsa_float_denorm_mode_16_64 3
		.amdhsa_dx10_clamp 1
		.amdhsa_ieee_mode 1
		.amdhsa_fp16_overflow 0
		.amdhsa_exception_fp_ieee_invalid_op 0
		.amdhsa_exception_fp_denorm_src 0
		.amdhsa_exception_fp_ieee_div_zero 0
		.amdhsa_exception_fp_ieee_overflow 0
		.amdhsa_exception_fp_ieee_underflow 0
		.amdhsa_exception_fp_ieee_inexact 0
		.amdhsa_exception_int_div_zero 0
	.end_amdhsa_kernel
	.text
.Lfunc_end0:
	.size	bluestein_single_back_len612_dim1_half_op_CI_CI, .Lfunc_end0-bluestein_single_back_len612_dim1_half_op_CI_CI
                                        ; -- End function
	.section	.AMDGPU.csdata,"",@progbits
; Kernel info:
; codeLenInByte = 27364
; NumSgprs: 52
; NumVgprs: 230
; ScratchSize: 0
; MemoryBound: 0
; FloatMode: 240
; IeeeMode: 1
; LDSByteSize: 2448 bytes/workgroup (compile time only)
; SGPRBlocks: 6
; VGPRBlocks: 57
; NumSGPRsForWavesPerEU: 52
; NumVGPRsForWavesPerEU: 230
; Occupancy: 1
; WaveLimiterHint : 1
; COMPUTE_PGM_RSRC2:SCRATCH_EN: 0
; COMPUTE_PGM_RSRC2:USER_SGPR: 6
; COMPUTE_PGM_RSRC2:TRAP_HANDLER: 0
; COMPUTE_PGM_RSRC2:TGID_X_EN: 1
; COMPUTE_PGM_RSRC2:TGID_Y_EN: 0
; COMPUTE_PGM_RSRC2:TGID_Z_EN: 0
; COMPUTE_PGM_RSRC2:TIDIG_COMP_CNT: 0
	.type	__hip_cuid_f95adaa7ad46e9a,@object ; @__hip_cuid_f95adaa7ad46e9a
	.section	.bss,"aw",@nobits
	.globl	__hip_cuid_f95adaa7ad46e9a
__hip_cuid_f95adaa7ad46e9a:
	.byte	0                               ; 0x0
	.size	__hip_cuid_f95adaa7ad46e9a, 1

	.ident	"AMD clang version 19.0.0git (https://github.com/RadeonOpenCompute/llvm-project roc-6.4.0 25133 c7fe45cf4b819c5991fe208aaa96edf142730f1d)"
	.section	".note.GNU-stack","",@progbits
	.addrsig
	.addrsig_sym __hip_cuid_f95adaa7ad46e9a
	.amdgpu_metadata
---
amdhsa.kernels:
  - .args:
      - .actual_access:  read_only
        .address_space:  global
        .offset:         0
        .size:           8
        .value_kind:     global_buffer
      - .actual_access:  read_only
        .address_space:  global
        .offset:         8
        .size:           8
        .value_kind:     global_buffer
      - .actual_access:  read_only
        .address_space:  global
        .offset:         16
        .size:           8
        .value_kind:     global_buffer
      - .actual_access:  read_only
        .address_space:  global
        .offset:         24
        .size:           8
        .value_kind:     global_buffer
      - .actual_access:  read_only
        .address_space:  global
        .offset:         32
        .size:           8
        .value_kind:     global_buffer
      - .offset:         40
        .size:           8
        .value_kind:     by_value
      - .address_space:  global
        .offset:         48
        .size:           8
        .value_kind:     global_buffer
      - .address_space:  global
        .offset:         56
        .size:           8
        .value_kind:     global_buffer
      - .address_space:  global
        .offset:         64
        .size:           8
        .value_kind:     global_buffer
      - .address_space:  global
        .offset:         72
        .size:           8
        .value_kind:     global_buffer
      - .offset:         80
        .size:           4
        .value_kind:     by_value
      - .address_space:  global
        .offset:         88
        .size:           8
        .value_kind:     global_buffer
      - .address_space:  global
        .offset:         96
        .size:           8
        .value_kind:     global_buffer
    .group_segment_fixed_size: 2448
    .kernarg_segment_align: 8
    .kernarg_segment_size: 104
    .language:       OpenCL C
    .language_version:
      - 2
      - 0
    .max_flat_workgroup_size: 51
    .name:           bluestein_single_back_len612_dim1_half_op_CI_CI
    .private_segment_fixed_size: 0
    .sgpr_count:     52
    .sgpr_spill_count: 0
    .symbol:         bluestein_single_back_len612_dim1_half_op_CI_CI.kd
    .uniform_work_group_size: 1
    .uses_dynamic_stack: false
    .vgpr_count:     230
    .vgpr_spill_count: 0
    .wavefront_size: 64
amdhsa.target:   amdgcn-amd-amdhsa--gfx906
amdhsa.version:
  - 1
  - 2
...

	.end_amdgpu_metadata
